;; amdgpu-corpus repo=ROCm/Tensile kind=harvested arch=n/a opt=n/a

/******************************************/
/* Function Prefix                        */
/******************************************/



/******************************************/
/* Begin Kernel                           */
/******************************************/

// Component.Signature.SignatureDefault
.amdgcn_target "amdgcn-amd-amdhsa--gfx942"
.text
.protected Cijk_Ailk_Bjlk_SB_MT32x32x128_MI16x16x4x1_SN_1LDSB1_APM1_AF0EM1_AF1EM1_AMAS0_ASGT_ASLT097_1385_ASEM1_BL1_BS1_CLR0_DTVA0_DTVB0_ETSP_EPS1_ELFLR0_EMLL0_FSSC10_FL1_GLVWA1_GLVWB2_GRCGA1_GRCGB1_GRVWn1_GSU32_GSUAMB_GLS0_IU1_K1_LBSPPA0_LBSPPB0_LPA16_LPB0_LRVW1_MIAV0_MKFGSU256_NTA0_NTB0_NTC0_NTD0_NEPBS0_NLCA1_NLCB1_ONLL1_PK0_PGR2_PLR9_PKA0_SIA3_SS1_SU0_SUM0_SUS0_SPO1_SRVW0_SSO8_SVW1_TSGRA0_TSGRB0_TT2_32_TLDS0_UMLDSA0_UMLDSB0_USFGROn1_VAW1_VSn1_VW1_VWB2_VFLRP0_WSGRA0_WSGRB0_WG16_4_4_WGM6
.globl Cijk_Ailk_Bjlk_SB_MT32x32x128_MI16x16x4x1_SN_1LDSB1_APM1_AF0EM1_AF1EM1_AMAS0_ASGT_ASLT097_1385_ASEM1_BL1_BS1_CLR0_DTVA0_DTVB0_ETSP_EPS1_ELFLR0_EMLL0_FSSC10_FL1_GLVWA1_GLVWB2_GRCGA1_GRCGB1_GRVWn1_GSU32_GSUAMB_GLS0_IU1_K1_LBSPPA0_LBSPPB0_LPA16_LPB0_LRVW1_MIAV0_MKFGSU256_NTA0_NTB0_NTC0_NTD0_NEPBS0_NLCA1_NLCB1_ONLL1_PK0_PGR2_PLR9_PKA0_SIA3_SS1_SU0_SUM0_SUS0_SPO1_SRVW0_SSO8_SVW1_TSGRA0_TSGRB0_TT2_32_TLDS0_UMLDSA0_UMLDSB0_USFGROn1_VAW1_VSn1_VW1_VWB2_VFLRP0_WSGRA0_WSGRB0_WG16_4_4_WGM6
.p2align 8
.type Cijk_Ailk_Bjlk_SB_MT32x32x128_MI16x16x4x1_SN_1LDSB1_APM1_AF0EM1_AF1EM1_AMAS0_ASGT_ASLT097_1385_ASEM1_BL1_BS1_CLR0_DTVA0_DTVB0_ETSP_EPS1_ELFLR0_EMLL0_FSSC10_FL1_GLVWA1_GLVWB2_GRCGA1_GRCGB1_GRVWn1_GSU32_GSUAMB_GLS0_IU1_K1_LBSPPA0_LBSPPB0_LPA16_LPB0_LRVW1_MIAV0_MKFGSU256_NTA0_NTB0_NTC0_NTD0_NEPBS0_NLCA1_NLCB1_ONLL1_PK0_PGR2_PLR9_PKA0_SIA3_SS1_SU0_SUM0_SUS0_SPO1_SRVW0_SSO8_SVW1_TSGRA0_TSGRB0_TT2_32_TLDS0_UMLDSA0_UMLDSB0_USFGROn1_VAW1_VSn1_VW1_VWB2_VFLRP0_WSGRA0_WSGRB0_WG16_4_4_WGM6,@function
.section .rodata,#alloc
.p2align 6
.amdhsa_kernel Cijk_Ailk_Bjlk_SB_MT32x32x128_MI16x16x4x1_SN_1LDSB1_APM1_AF0EM1_AF1EM1_AMAS0_ASGT_ASLT097_1385_ASEM1_BL1_BS1_CLR0_DTVA0_DTVB0_ETSP_EPS1_ELFLR0_EMLL0_FSSC10_FL1_GLVWA1_GLVWB2_GRCGA1_GRCGB1_GRVWn1_GSU32_GSUAMB_GLS0_IU1_K1_LBSPPA0_LBSPPB0_LPA16_LPB0_LRVW1_MIAV0_MKFGSU256_NTA0_NTB0_NTC0_NTD0_NEPBS0_NLCA1_NLCB1_ONLL1_PK0_PGR2_PLR9_PKA0_SIA3_SS1_SU0_SUM0_SUS0_SPO1_SRVW0_SSO8_SVW1_TSGRA0_TSGRB0_TT2_32_TLDS0_UMLDSA0_UMLDSB0_USFGROn1_VAW1_VSn1_VW1_VWB2_VFLRP0_WSGRA0_WSGRB0_WG16_4_4_WGM6
  .amdhsa_user_sgpr_kernarg_segment_ptr 1
  .amdhsa_user_sgpr_kernarg_preload_offset 0
  .amdhsa_user_sgpr_kernarg_preload_length 0
  .amdhsa_user_sgpr_count 2
  .amdhsa_accum_offset 112 // accvgpr offset
  .amdhsa_next_free_vgpr 128 // vgprs
  .amdhsa_next_free_sgpr 62 // sgprs
  .amdhsa_group_segment_fixed_size 40960 // lds bytes
  .amdhsa_private_segment_fixed_size 0
  .amdhsa_system_sgpr_workgroup_id_x 1
  .amdhsa_system_sgpr_workgroup_id_y 1
  .amdhsa_system_sgpr_workgroup_id_z 1
  .amdhsa_system_vgpr_workitem_id 0
  .amdhsa_float_denorm_mode_32 3
  .amdhsa_float_denorm_mode_16_64 3
.end_amdhsa_kernel
.text

/******************************************/
/* Optimizations and Config:              */
/******************************************/
/* ThreadTile= 8 x 2 */
/* SubGroup= 4 x 16 */
/* VectorWidthA=1 */
/* VectorWidthB=2 */
/* GlobalLoadVectorWidthA=1, GlobalLoadVectorWidthB=2 */
/* DirectToLdsA=False */
/* DirectToLdsB=False */
/* UseSgprForGRO=False */
.amdgpu_metadata
---
amdhsa.version:
  - 1
  - 1
amdhsa.target: amdgcn-amd-amdhsa--gfx942
amdhsa.kernels:
  - .name: Cijk_Ailk_Bjlk_SB_MT32x32x128_MI16x16x4x1_SN_1LDSB1_APM1_AF0EM1_AF1EM1_AMAS0_ASGT_ASLT097_1385_ASEM1_BL1_BS1_CLR0_DTVA0_DTVB0_ETSP_EPS1_ELFLR0_EMLL0_FSSC10_FL1_GLVWA1_GLVWB2_GRCGA1_GRCGB1_GRVWn1_GSU32_GSUAMB_GLS0_IU1_K1_LBSPPA0_LBSPPB0_LPA16_LPB0_LRVW1_MIAV0_MKFGSU256_NTA0_NTB0_NTC0_NTD0_NEPBS0_NLCA1_NLCB1_ONLL1_PK0_PGR2_PLR9_PKA0_SIA3_SS1_SU0_SUM0_SUS0_SPO1_SRVW0_SSO8_SVW1_TSGRA0_TSGRB0_TT2_32_TLDS0_UMLDSA0_UMLDSB0_USFGROn1_VAW1_VSn1_VW1_VWB2_VFLRP0_WSGRA0_WSGRB0_WG16_4_4_WGM6
    .symbol: 'Cijk_Ailk_Bjlk_SB_MT32x32x128_MI16x16x4x1_SN_1LDSB1_APM1_AF0EM1_AF1EM1_AMAS0_ASGT_ASLT097_1385_ASEM1_BL1_BS1_CLR0_DTVA0_DTVB0_ETSP_EPS1_ELFLR0_EMLL0_FSSC10_FL1_GLVWA1_GLVWB2_GRCGA1_GRCGB1_GRVWn1_GSU32_GSUAMB_GLS0_IU1_K1_LBSPPA0_LBSPPB0_LPA16_LPB0_LRVW1_MIAV0_MKFGSU256_NTA0_NTB0_NTC0_NTD0_NEPBS0_NLCA1_NLCB1_ONLL1_PK0_PGR2_PLR9_PKA0_SIA3_SS1_SU0_SUM0_SUS0_SPO1_SRVW0_SSO8_SVW1_TSGRA0_TSGRB0_TT2_32_TLDS0_UMLDSA0_UMLDSB0_USFGROn1_VAW1_VSn1_VW1_VWB2_VFLRP0_WSGRA0_WSGRB0_WG16_4_4_WGM6.kd'
    .language:                   OpenCL C
    .language_version:
      - 2
      - 0
    .args:
      - .name:            Tensor2dSizeA
        .size:            8
        .offset:          0
        .value_kind:      by_value
        .value_type:      u64
      - .name:            Tensor2dSizeB
        .size:            8
        .offset:          8
        .value_kind:      by_value
        .value_type:      u64
      - .name:            AddressD
        .size:            8
        .offset:          16
        .value_kind:      by_value
        .value_type:      u64
      - .name:            AddressC
        .size:            8
        .offset:          24
        .value_kind:      by_value
        .value_type:      u64
      - .name:            AddressA
        .size:            8
        .offset:          32
        .value_kind:      by_value
        .value_type:      u64
      - .name:            AddressB
        .size:            8
        .offset:          40
        .value_kind:      by_value
        .value_type:      u64
      - .name:            Alpha
        .size:            4
        .offset:          48
        .value_kind:      by_value
        .value_type:      u32
      - .name:            Beta
        .size:            4
        .offset:          52
        .value_kind:      by_value
        .value_type:      u32
      - .name:            StridesD
        .size:            8
        .offset:          56
        .value_kind:      by_value
        .value_type:      u64
      - .name:            StridesC
        .size:            8
        .offset:          64
        .value_kind:      by_value
        .value_type:      u64
      - .name:            StridesA
        .size:            8
        .offset:          72
        .value_kind:      by_value
        .value_type:      u64
      - .name:            StridesB
        .size:            8
        .offset:          80
        .value_kind:      by_value
        .value_type:      u64
      - .name:            SizesFree
        .size:            12
        .offset:          88
        .value_kind:      by_value
        .value_type:      u96
      - .name:            SizesSum
        .size:            4
        .offset:          100
        .value_kind:      by_value
        .value_type:      u32
      - .name:            NumWorkGroups0
        .size:            4
        .offset:          104
        .value_kind:      by_value
        .value_type:      u32
      - .name:            NumWorkGroups1
        .size:            4
        .offset:          108
        .value_kind:      by_value
        .value_type:      u32
      - .name:            NumFullBlocks
        .size:            4
        .offset:          112
        .value_kind:      by_value
        .value_type:      u32
      - .name:            WgmRemainder1
        .size:            4
        .offset:          116
        .value_kind:      by_value
        .value_type:      u32
      - .name:            MagicNumberWgmRemainder1
        .size:            4
        .offset:          120
        .value_kind:      by_value
        .value_type:      u32
    .group_segment_fixed_size:   40960
    .kernarg_segment_align:      8
    .kernarg_segment_size:       128
    .max_flat_workgroup_size:    256
    .private_segment_fixed_size: 0
    .sgpr_count:                 62
    .sgpr_spill_count:           0
    .vgpr_count:                 109
    .vgpr_spill_count:           0
    .wavefront_size:             64
...
.end_amdgpu_metadata
Cijk_Ailk_Bjlk_SB_MT32x32x128_MI16x16x4x1_SN_1LDSB1_APM1_AF0EM1_AF1EM1_AMAS0_ASGT_ASLT097_1385_ASEM1_BL1_BS1_CLR0_DTVA0_DTVB0_ETSP_EPS1_ELFLR0_EMLL0_FSSC10_FL1_GLVWA1_GLVWB2_GRCGA1_GRCGB1_GRVWn1_GSU32_GSUAMB_GLS0_IU1_K1_LBSPPA0_LBSPPB0_LPA16_LPB0_LRVW1_MIAV0_MKFGSU256_NTA0_NTB0_NTC0_NTD0_NEPBS0_NLCA1_NLCB1_ONLL1_PK0_PGR2_PLR9_PKA0_SIA3_SS1_SU0_SUM0_SUS0_SPO1_SRVW0_SSO8_SVW1_TSGRA0_TSGRB0_TT2_32_TLDS0_UMLDSA0_UMLDSB0_USFGROn1_VAW1_VSn1_VW1_VWB2_VFLRP0_WSGRA0_WSGRB0_WG16_4_4_WGM6:

/******************************************/
/* Asm syntax workarounds                 */
/******************************************/
.macro _v_add_co_u32 dst:req, cc:req, src0:req, src1:req, dpp=
   v_add_co_u32 \dst, \cc, \src0, \src1 \dpp
.endm

.macro _v_add_u32 dst:req, src0:req, src1:req, dpp=
   v_add_u32 \dst, \src0, \src1 \dpp
.endm

.macro _v_add_i32 dst:req, src0:req, src1:req, dpp=
   v_add_i32 \dst, \src0, \src1 \dpp
.endm

.macro _v_addc_co_u32 dst:req, ccOut:req, src0:req, ccIn:req, src1:req, dpp=
   v_addc_co_u32 \dst, \ccOut, \src0, \ccIn, \src1 \dpp
.endm

.macro _v_sub_co_u32 dst:req, cc:req, src0:req, src1:req, dpp=
   v_sub_co_u32 \dst, \cc, \src0, \src1 \dpp
.endm

.macro _v_sub_u32 dst:req, src0:req, src1:req, dpp=
   v_sub_u32 \dst, \src0, \src1 \dpp
.endm

.macro _v_sub_i32 dst:req, src0:req, src1:req, dpp=
   v_sub_i32 \dst, \src0, \src1 \dpp
.endm

.macro _v_add_lshl_u32 dst:req, src0:req, src1:req, shiftCnt:req
    v_add_lshl_u32 \dst, \src0, \src1, \shiftCnt
.endm

.macro _v_lshl_add_u32 dst:req, src0:req, src1:req, shiftCnt:req
    v_lshl_add_u32 \dst, \src0, \src1, \shiftCnt
.endm

.macro _v_lshl_or_b32 dst:req, src0:req, shiftCnt:req, src1:req
    v_lshl_or_b32 \dst, \src0, \shiftCnt, \src1
.endm

.macro _v_dot2acc_f32_f16 dst, src0, src1
v_dot2c_f32_f16 \dst, \src0, \src1
.endm

.macro _v_cmpx_lt_i16 dst, src0, src1=
   v_cmpx_lt_i16 \dst, \src0, \src1 
.endm

.macro _v_cmpx_lt_i32 dst, src0, src1=
   v_cmpx_lt_i32 \dst, \src0, \src1 
.endm

.macro _v_cmpx_lt_i64 dst, src0, src1=
   v_cmpx_lt_i64 \dst, \src0, \src1 
.endm

.macro _v_cmpx_lt_u16 dst, src0, src1=
   v_cmpx_lt_u16 \dst, \src0, \src1 
.endm

.macro _v_cmpx_lt_u32 dst, src0, src1=
   v_cmpx_lt_u32 \dst, \src0, \src1 
.endm

.macro _v_cmpx_lt_u64 dst, src0, src1=
   v_cmpx_lt_u64 \dst, \src0, \src1 
.endm

.macro _v_cmpx_eq_i16 dst, src0, src1=
   v_cmpx_eq_i16 \dst, \src0, \src1 
.endm

.macro _v_cmpx_eq_i32 dst, src0, src1=
   v_cmpx_eq_i32 \dst, \src0, \src1 
.endm

.macro _v_cmpx_eq_i64 dst, src0, src1=
   v_cmpx_eq_i64 \dst, \src0, \src1 
.endm

.macro _v_cmpx_eq_u16 dst, src0, src1=
   v_cmpx_eq_u16 \dst, \src0, \src1 
.endm

.macro _v_cmpx_eq_u32 dst, src0, src1=
   v_cmpx_eq_u32 \dst, \src0, \src1 
.endm

.macro _v_cmpx_eq_u64 dst, src0, src1=
   v_cmpx_eq_u64 \dst, \src0, \src1 
.endm

.macro _v_cmpx_le_i16 dst, src0, src1=
   v_cmpx_le_i16 \dst, \src0, \src1 
.endm

.macro _v_cmpx_le_i32 dst, src0, src1=
   v_cmpx_le_i32 \dst, \src0, \src1 
.endm

.macro _v_cmpx_le_i64 dst, src0, src1=
   v_cmpx_le_i64 \dst, \src0, \src1 
.endm

.macro _v_cmpx_le_u16 dst, src0, src1=
   v_cmpx_le_u16 \dst, \src0, \src1 
.endm

.macro _v_cmpx_le_u32 dst, src0, src1=
   v_cmpx_le_u32 \dst, \src0, \src1 
.endm

.macro _v_cmpx_le_u64 dst, src0, src1=
   v_cmpx_le_u64 \dst, \src0, \src1 
.endm

.macro _v_cmpx_gt_i16 dst, src0, src1=
   v_cmpx_gt_i16 \dst, \src0, \src1 
.endm

.macro _v_cmpx_gt_i32 dst, src0, src1=
   v_cmpx_gt_i32 \dst, \src0, \src1 
.endm

.macro _v_cmpx_gt_i64 dst, src0, src1=
   v_cmpx_gt_i64 \dst, \src0, \src1 
.endm

.macro _v_cmpx_gt_u16 dst, src0, src1=
   v_cmpx_gt_u16 \dst, \src0, \src1 
.endm

.macro _v_cmpx_gt_u32 dst, src0, src1=
   v_cmpx_gt_u32 \dst, \src0, \src1 
.endm

.macro _v_cmpx_gt_u64 dst, src0, src1=
   v_cmpx_gt_u64 \dst, \src0, \src1 
.endm

.macro _v_cmpx_ne_i16 dst, src0, src1=
   v_cmpx_ne_i16 \dst, \src0, \src1 
.endm

.macro _v_cmpx_ne_i32 dst, src0, src1=
   v_cmpx_ne_i32 \dst, \src0, \src1 
.endm

.macro _v_cmpx_ne_i64 dst, src0, src1=
   v_cmpx_ne_i64 \dst, \src0, \src1 
.endm

.macro _v_cmpx_ne_u16 dst, src0, src1=
   v_cmpx_ne_u16 \dst, \src0, \src1 
.endm

.macro _v_cmpx_ne_u32 dst, src0, src1=
   v_cmpx_ne_u32 \dst, \src0, \src1 
.endm

.macro _v_cmpx_ne_u64 dst, src0, src1=
   v_cmpx_ne_u64 \dst, \src0, \src1 
.endm

.macro _v_cmpx_lg_i16 dst, src0, src1=
   v_cmpx_lg_i16 \dst, \src0, \src1 
.endm

.macro _v_cmpx_lg_i32 dst, src0, src1=
   v_cmpx_lg_i32 \dst, \src0, \src1 
.endm

.macro _v_cmpx_lg_i64 dst, src0, src1=
   v_cmpx_lg_i64 \dst, \src0, \src1 
.endm

.macro _v_cmpx_lg_u16 dst, src0, src1=
   v_cmpx_lg_u16 \dst, \src0, \src1 
.endm

.macro _v_cmpx_lg_u32 dst, src0, src1=
   v_cmpx_lg_u32 \dst, \src0, \src1 
.endm

.macro _v_cmpx_lg_u64 dst, src0, src1=
   v_cmpx_lg_u64 \dst, \src0, \src1 
.endm

.macro _v_cmpx_ge_i16 dst, src0, src1=
   v_cmpx_ge_i16 \dst, \src0, \src1 
.endm

.macro _v_cmpx_ge_i32 dst, src0, src1=
   v_cmpx_ge_i32 \dst, \src0, \src1 
.endm

.macro _v_cmpx_ge_i64 dst, src0, src1=
   v_cmpx_ge_i64 \dst, \src0, \src1 
.endm

.macro _v_cmpx_ge_u16 dst, src0, src1=
   v_cmpx_ge_u16 \dst, \src0, \src1 
.endm

.macro _v_cmpx_ge_u32 dst, src0, src1=
   v_cmpx_ge_u32 \dst, \src0, \src1 
.endm

.macro _v_cmpx_ge_u64 dst, src0, src1=
   v_cmpx_ge_u64 \dst, \src0, \src1 
.endm

.macro _v_cmpx_o_i16 dst, src0, src1=
   v_cmpx_o_i16 \dst, \src0, \src1 
.endm

.macro _v_cmpx_o_i32 dst, src0, src1=
   v_cmpx_o_i32 \dst, \src0, \src1 
.endm

.macro _v_cmpx_o_i64 dst, src0, src1=
   v_cmpx_o_i64 \dst, \src0, \src1 
.endm

.macro _v_cmpx_o_u16 dst, src0, src1=
   v_cmpx_o_u16 \dst, \src0, \src1 
.endm

.macro _v_cmpx_o_u32 dst, src0, src1=
   v_cmpx_o_u32 \dst, \src0, \src1 
.endm

.macro _v_cmpx_o_u64 dst, src0, src1=
   v_cmpx_o_u64 \dst, \src0, \src1 
.endm

.macro _v_cmpx_u_i16 dst, src0, src1=
   v_cmpx_u_i16 \dst, \src0, \src1 
.endm

.macro _v_cmpx_u_i32 dst, src0, src1=
   v_cmpx_u_i32 \dst, \src0, \src1 
.endm

.macro _v_cmpx_u_i64 dst, src0, src1=
   v_cmpx_u_i64 \dst, \src0, \src1 
.endm

.macro _v_cmpx_u_u16 dst, src0, src1=
   v_cmpx_u_u16 \dst, \src0, \src1 
.endm

.macro _v_cmpx_u_u32 dst, src0, src1=
   v_cmpx_u_u32 \dst, \src0, \src1 
.endm

.macro _v_cmpx_u_u64 dst, src0, src1=
   v_cmpx_u_u64 \dst, \src0, \src1 
.endm
.macro _v_mac_f32 c:req, a:req, b:req
    v_fmac_f32 \c, \a, \b
.endmacro

/* scale global load macros */
.macro _s_load_b32 dst base offset
    s_load_dword \dst \base \offset
.endm

.macro _s_load_b64 dst base offset
    s_load_dwordx2 \dst \base \offset
.endm

.macro _s_load_b128 dst base offset
    s_load_dwordx4 \dst \base \offset
.endm

.macro _s_load_b256 dst base offset
    s_load_dwordx8 \dst \base \offset
.endm

.macro _s_load_b512 dst base offset
    s_load_dwordx16 \dst \base \offset
.endm


/* ds operation macros */
.macro _ds_load_u8 dst src offset
    ds_read_u8 \dst \src \offset
.endm

.macro _ds_load_u8_d16_hi dst src offset
    ds_read_u8_d16_hi \dst \src \offset
.endm

.macro _ds_load_u16 dst src offset
    ds_read_u16 \dst \src \offset
.endm

.macro _ds_load_u16_d16_hi dst src offset
    ds_read_u16_d16_hi \dst \src \offset
.endm

.macro _ds_load_b32 dst src offset
    ds_read_b32 \dst \src \offset
.endm

.macro _ds_load_b64 dst src offset
    ds_read_b64 \dst \src \offset
.endm

.macro _ds_load_b128 dst src offset
    ds_read_b128 \dst \src \offset
.endm

.macro _ds_store_b8 dst src offset
    ds_write_b8 \dst \src \offset
.endm

.macro _ds_store_b8_d16_hi dst src offset
    ds_write_b8_d16_hi \dst \src \offset
.endm

.macro _ds_store_b16 dst src offset
    ds_write_b16 \dst \src \offset
.endm

.macro _ds_store_b16_d16_hi dst src offset
    ds_write_b16_d16_hi \dst \src \offset
.endm

.macro _ds_store_b32 dst src offset
    ds_write_b32 \dst \src \offset
.endm

.macro _ds_store_b64 dst src offset
    ds_write_b64 \dst \src \offset
.endm

.macro _ds_store_b128 dst src offset
    ds_write_b128 \dst \src \offset
.endm

.macro _ds_load2_b32 dst src offset1 offset2
    ds_read2_b32 \dst \src \offset1 \offset2
.endm

.macro _ds_load2_b64 dst src offset1 offset2
    ds_read2_b64 \dst \src \offset1 \offset2
.endm

.macro _ds_store2_b32 dst src offset1 offset2
    ds_write2_b32 \dst \src \offset1 \offset2
.endm

.macro _ds_store2_b64 dst src offset1 offset2
    ds_write2_b64 \dst \src \offset1 \offset2
.endm


/* buffer memory operation macros */
.macro _buffer_load_b32 dst voffset base soffset offen ioffset md0 md1 md2
    buffer_load_dword \dst \voffset \base \soffset \offen \ioffset \md0 \md1 \md2
.endm

.macro _buffer_load_b64 dst voffset base soffset offen ioffset md0 md1 md2
    buffer_load_dwordx2 \dst \voffset \base \soffset \offen \ioffset \md0 \md1 \md2
.endm

.macro _buffer_load_b96 dst voffset base soffset offen ioffset md0 md1 md2
    buffer_load_dwordx3 \dst \voffset \base \soffset \offen \ioffset \md0 \md1 \md2
.endm

.macro _buffer_load_b128 dst voffset base soffset offen ioffset md0 md1 md2
    buffer_load_dwordx4 \dst \voffset \base \soffset \offen \ioffset \md0 \md1 \md2
.endm

.macro _buffer_load_d16_b16 dst voffset base soffset offen ioffset md0 md1 md2
    buffer_load_short_d16 \dst \voffset \base \soffset \offen \ioffset \md0 \md1 \md2
.endm

.macro _buffer_load_d16_hi_b16 dst voffset base soffset offen ioffset md0 md1 md2
    buffer_load_short_d16_hi \dst \voffset \base \soffset \offen \ioffset \md0 \md1 \md2
.endm

.macro _buffer_load_d16_u8 dst voffset base soffset offen ioffset md0 md1 md2
    buffer_load_ubyte_d16 \dst \voffset \base \soffset \offen \ioffset \md0 \md1 \md2
.endm

.macro _buffer_load_d16_hi_u8 dst voffset base soffset offen ioffset md0 md1 md2
    buffer_load_ubyte_d16_hi \dst \voffset \base \soffset \offen \ioffset \md0 \md1 \md2
.endm

.macro _buffer_load_u16 dst voffset base soffset offen ioffset md0 md1 md2
    buffer_load_ushort \dst \voffset \base \soffset \offen \ioffset \md0 \md1 \md2
.endm

.macro _buffer_load_b32_dtl voffset base soffset offen ioffset md0 md1 md2
    buffer_load_dword \voffset \base \soffset \offen \ioffset \md0 \md1 \md2
.endm

.macro _buffer_load_b64_dtl voffset base soffset offen ioffset md0 md1 md2
    buffer_load_dwordx2 \voffset \base \soffset \offen \ioffset \md0 \md1 \md2
.endm

.macro _buffer_load_b128_dtl voffset base soffset offen ioffset md0 md1 md2
    buffer_load_dwordx4 \voffset \base \soffset \offen \ioffset \md0 \md1 \md2
.endm

.macro _buffer_load_u16_dtl voffset base soffset offen ioffset md0 md1 md2
    buffer_load_ushort \voffset \base \soffset \offen \ioffset \md0 \md1 \md2
.endm

.macro _buffer_store_b32 src voffset base soffset offen ioffset md0 md1 md2
    buffer_store_dword \src \voffset \base \soffset \offen \ioffset \md0 \md1 \md2
.endm

.macro _buffer_store_b64 src voffset base soffset offen ioffset md0 md1 md2
    buffer_store_dwordx2 \src \voffset \base \soffset \offen \ioffset \md0 \md1 \md2
.endm

.macro _buffer_store_b96 src voffset base soffset offen ioffset md0 md1 md2
    buffer_store_dwordx3 \src \voffset \base \soffset \offen \ioffset \md0 \md1 \md2
.endm

.macro _buffer_store_b128 src voffset base soffset offen ioffset md0 md1 md2
    buffer_store_dwordx4 \src \voffset \base \soffset \offen \ioffset \md0 \md1 \md2
.endm

.macro _buffer_store_b16 src voffset base soffset offen ioffset md0 md1 md2
    buffer_store_short \src \voffset \base \soffset \offen \ioffset \md0 \md1 \md2
.endm

.macro _buffer_store_d16_hi_b16 src voffset base soffset offen ioffset md0 md1 md2
    buffer_store_short_d16_hi \src \voffset \base \soffset \offen \ioffset \md0 \md1 \md2
.endm

.macro _buffer_store_b8 src voffset base soffset offen ioffset md0 md1 md2
    buffer_store_byte \src \voffset \base \soffset \offen \ioffset \md0 \md1 \md2
.endm

.macro _buffer_store_d16_hi_b8 src voffset base soffset offen ioffset md0 md1 md2
    buffer_store_byte_d16_hi \src \voffset \base \soffset \offen \ioffset \md0 \md1 \md2
.endm

.macro _buffer_atomic_cmpswap_b32 dst voffset base soffset offen ioffset md0 md1 md2
    buffer_atomic_cmpswap \dst \voffset \base \soffset \offen \ioffset \md0 \md1 \md2
.endm

.macro _buffer_atomic_cmpswap_b64 dst voffset base soffset offen ioffset md0 md1 md2
    buffer_atomic_cmpswap_x2 \dst \voffset \base \soffset \offen \ioffset \md0 \md1 \md2
.endm


/* buffer memory operation macros */
.macro _global_load_b32 dst base src ioffset md0 md1 md2
    global_load_dword \dst \base \src \ioffset \md0 \md1 \md2
.endm

.macro _global_load_b64 dst base src ioffset md0 md1 md2
    global_load_dwordx2 \dst \base \src \ioffset \md0 \md1 \md2
.endm

.macro _global_load_b96 dst base src ioffset md0 md1 md2
    global_load_dwordx3 \dst \base \src \ioffset \md0 \md1 \md2
.endm

.macro _global_load_b128 dst base src ioffset md0 md1 md2
    global_load_dwordx4 \dst \base \src \ioffset \md0 \md1 \md2
.endm

.macro _global_load_d16_b16 dst base src ioffset md0 md1 md2
    global_load_short_d16 \dst \base \src \ioffset \md0 \md1 \md2
.endm

.macro _global_load_d16_hi_b16 dst base src ioffset md0 md1 md2
    global_load_short_d16_hi \dst \base \src \ioffset \md0 \md1 \md2
.endm

.macro _global_load_d16_u8 dst base src ioffset md0 md1 md2
    global_load_ubyte_d16 \dst \base \src \ioffset \md0 \md1 \md2
.endm

.macro _global_load_d16_hi_u8 dst base src ioffset md0 md1 md2
    global_load_ubyte_d16_hi \dst \base \src \ioffset \md0 \md1 \md2
.endm

.macro _global_load_u16 dst base src ioffset md0 md1 md2
    global_load_ushort \dst \base \src \ioffset \md0 \md1 \md2
.endm

.macro _global_store_b32 base src src2 md0 md1 md2
    global_store_dword \base \src \src2 \md0 \md1 \md2
.endm

.macro _global_store_b64 base src src2 md0 md1 md2
    global_store_dwordx2 \base \src \src2 \md0 \md1 \md2
.endm

.macro _global_store_b96 base src src2 md0 md1 md2
    global_store_dwordx3 \base \src \src2 \md0 \md1 \md2
.endm

.macro _global_store_b128 base src src2 md0 md1 md2
    global_store_dwordx4 \base \src \src2 \md0 \md1 \md2
.endm

.macro _global_store_d16_b16 base src src2 md0 md1 md2
    global_store_short \base \src \src2 \md0 \md1 \md2
.endm

.macro _global_store_d16_hi_b16 base src src2 md0 md1 md2
    global_store_short_d16_hi \base \src \src2 \md0 \md1 \md2
.endm

.macro _global_store_d16_u8 base src src2 md0 md1 md2
    global_store_ubyte_d16 \base \src \src2 \md0 \md1 \md2
.endm

.macro _global_store_d16_hi_u8 base src src2 md0 md1 md2
    global_store_ubyte_d16_hi \base \src \src2 \md0 \md1 \md2
.endm

.macro _global_store_u16 base src src2 md0 md1 md2
    global_store_ushort \base \src \src2 \md0 \md1 \md2
.endm

.macro _global_atomic_cmpswap_b32 tmp base data src ioffset md
    global_atomic_cmpswap \tmp \base \data \src \ioffset \md
.endm

.macro _global_atomic_cmpswap_b64 tmp base data src ioffset md
    global_atomic_cmpswap_x2 \tmp \base \data \src \ioffset \md
.endm


/******************************************/
/* Magic div and mod functions            */
/******************************************/
.macro V_MAGIC_DIV dstIdx:req, dividend:req, magicNumber:req, magicShift:req, magicA:req
    v_mul_hi_u32 v[\dstIdx+1], \dividend, \magicNumber
    v_mul_lo_u32 v[\dstIdx+0], \dividend, \magicA
    _v_add_u32 v[\dstIdx+0], v[\dstIdx+0], v[\dstIdx+1]
    v_lshrrev_b32 v[\dstIdx+0], \magicShift, v[\dstIdx+0]
.endm

/******************************************/
/* VGPR Assignments                       */
/******************************************/
/* ValuC range: [0-16),  */
.set vgprValuC, 0
/* ValuA/B   Xn=PLR buffer idx,  In=InnerUnroll idx */
.set vgprValuA_X0_I0, 16
.set vgprValuA_X1_I0, 18
.set vgprValuA_X2_I0, 20
.set vgprValuA_X3_I0, 22
.set vgprValuA_X4_I0, 24
.set vgprValuA_X5_I0, 26
.set vgprValuA_X6_I0, 28
.set vgprValuA_X7_I0, 30
.set vgprG2LA, 74
.set vgprValuB_X0_I0, 32
.set vgprValuB_X1_I0, 34
.set vgprValuB_X2_I0, 36
.set vgprValuB_X3_I0, 38
.set vgprValuB_X4_I0, 40
.set vgprValuB_X5_I0, 42
.set vgprValuB_X6_I0, 44
.set vgprValuB_X7_I0, 46
.set vgprG2LB, 90
.set vgprLocalWriteAddrA, 48
.set vgprLocalWriteAddrB, 49
.set vgprGlobalReadOffsetA, 50
.set vgprGlobalReadOffsetB, 66
.set vgprLocalReadAddrA, 106
.set vgprLocalReadAddrB, 107
.set vgprSerial, 108
/* Num VGPR=109 */
/* Num AccVGPR=16 */

/******************************************/
/* SGPR Assignments                       */
/******************************************/
.set sgprKernArgAddress, 0 // (2)
.set sgprWorkGroup0, 2 // (1)
.set sgprWorkGroup1, 3 // (1)
.set sgprWorkGroup2, 4 // (1)
.set sgprGSUSumIdx, 5 // (2)
.set sgprLoopCounterL, 7 // (1)
.set sgprOrigLoopCounter, 8 // (1)
.set sgprSrdA, 12 // (4)
.set sgprSrdB, 16 // (4)
.set sgprSrdD, 20 // (4)
.set sgprSrdC, 24 // (4)
.set sgprTensor2dSizeA, 28 // (2)
.set sgprTensor2dSizeB, 30 // (2)
.set sgprAddressD, 32 // (2)
.set sgprAddressC, 34 // (2)
.set sgprAddressA, 36 // (2)
.set sgprAddressB, 38 // (2)
.set sgprAlpha, 40 // (1)
.set sgprBeta, 41 // (1)
.set sgprStridesD, 42 // (2)
.set sgprStridesC, 44 // (2)
.set sgprStridesA, 46 // (2)
.set sgprStridesB, 48 // (2)
.set sgprSizesFree, 50 // (3)
.set sgprSizesSum, 53 // (1)
.set sgprNumWorkGroups0, 54 // (1)
.set sgprNumWorkGroups1, 55 // (1)
.set sgprNumFullBlocks, 56 // (1)
.set sgprWgmRemainder1, 57 // (1)
.set sgprMagicNumberWgmRemainder1, 58 // (1)
.set sgprShadowLimitA, 0 // (2)
.set sgprShadowLimitB, 32 // (2)
.set sgprGlobalReadIncsA, 9 // (1)
.set sgprGlobalReadIncsB, 34 // (1)
/* max SGPR=62 */

/* Size Assignments */
.set sgprSizeI, sgprSizesFree+0
.set sgprSizeJ, sgprSizesFree+1
.set sgprSizeK, sgprSizesFree+2
.set sgprSizeL, sgprSizesSum+0

/* Stride Assignments */
.set constStrideD0I, 1
.set sgprStrideD1J, sgprStridesD+0
.set sgprStrideDK, sgprStridesD+1
.set constStrideC0I, 1
.set sgprStrideC1J, sgprStridesC+0
.set sgprStrideCK, sgprStridesC+1
.set constStrideA0I, 1
.set sgprStrideAL, sgprStridesA+0
.set sgprStrideAK, sgprStridesA+1
.set constStrideB1J, 1
.set sgprStrideBL, sgprStridesB+0
.set sgprStrideBK, sgprStridesB+1

.set MT0, 32
.set MT1, 32
.set DepthU, 128
.set GSU, 32
.set BpeA, 4
.set BpeALog2, 2
.set BpeB, 4
.set BpeBLog2, 2
/* Number of elements to shift-left SRD */
.set SrdShiftLeftA, 1
.set SrdShiftLeftB, 2
/* 2GB limit - set offsets to -1 to exceed this and clamp */
.set BufferLimitA, 0xffffffff
.set BufferLimitB, 0xffffffff
.set BufferOOB, 0xfffff000

/******************************************/
/* Bits 127:96 of SRD.                    */
/* hex: 0x00020000                        */
/* dst_sel_x (3b): 0                      */
/* dst_sel_y (3b): 0                      */
/* dst_sel_z (3b): 0                      */
/* dst_sel_w (3b): 0                      */
/* num_format (3b): 0                     */
/* data_format (4b): 4                    */
/* user_vm_enable (1b): 0                 */
/* user_vm_mode (1b): 0                   */
/* index_stride (2b): 0                   */
/* add_tid_enable (1b): 0                 */
/* _unusedA (3b): 0                       */
/* nv (1b): 0                             */
/* _unusedB (2b): 0                       */
/* type (2b): 0                           */
/******************************************/
.set Srd127_96, 0x00020000

/* Global Offset A */
.macro GLOBAL_OFFSET_A vgprAddr:req vgprOffset0I:req vgprOffsetL:req vgprTmp:req
v_mul_lo_u32 v[\vgprTmp+0], s[sgprStrideAL], v[\vgprOffsetL] // mul d1 lower
_v_add_co_u32 v[\vgprAddr+0], vcc, v[\vgprOffset0I], v[\vgprTmp+0] // accumulate K lower
_v_add_u32 v[\vgprAddr+0], 0x1, v[\vgprAddr+0]     // add prepad for pointer shift
v_lshlrev_b32 v[\vgprAddr+0], 0x2, v[\vgprAddr+0]  // offset *= bytes/element
.endm

/* Global Offset B */
.macro GLOBAL_OFFSET_B vgprAddr:req vgprOffset1J:req vgprOffsetL:req vgprTmp:req
v_mul_lo_u32 v[\vgprTmp+0], s[sgprStrideBL], v[\vgprOffsetL] // mul d1 lower
_v_add_co_u32 v[\vgprAddr+0], vcc, v[\vgprOffset1J], v[\vgprTmp+0] // accumulate K lower
_v_add_u32 v[\vgprAddr+0], 0x2, v[\vgprAddr+0]     // add prepad for pointer shift
v_lshlrev_b32 v[\vgprAddr+0], 0x2, v[\vgprAddr+0]  // offset *= bytes/element
.endm

/******************************************/
/* Dynamic Scalar Divide: vQuotient=vDividend/vDivisor; vRemainder=vDividend%vDivisor; */
/******************************************/
.macro DYNAMIC_VECTOR_DIVIDE vQuotient vRemainder vDividend vDivisor vTmp0 vTmp1 sTmp
v_cvt_f32_u32 v[\vQuotient], v[\vDivisor]          // 
v_rcp_f32 v[\vQuotient], v[\vQuotient]             // 
v_mul_f32 v[\vQuotient], 0x4f800000, v[\vQuotient] // 
v_cvt_u32_f32 v[\vQuotient], v[\vQuotient]         // 
v_mul_lo_u32 v[\vRemainder], v[\vDivisor], v[\vQuotient] // 
v_mul_hi_u32 v[\vTmp0], v[\vDivisor], v[\vQuotient] // 
_v_sub_co_u32 v[\vTmp1], vcc, 0x0, v[\vRemainder]  // 
v_cmp_ne_i32 s[\sTmp:\sTmp+1], 0x0, v[\vTmp0]      // 
v_cndmask_b32 v[\vRemainder], v[\vTmp1], v[\vRemainder], s[\sTmp:\sTmp+1] // 
v_mul_hi_u32 v[\vRemainder], v[\vRemainder], v[\vQuotient] // 
_v_sub_co_u32 v[\vTmp0], vcc, v[\vQuotient], v[\vRemainder] // 
_v_add_co_u32 v[\vQuotient], vcc, v[\vQuotient], v[\vRemainder] // 
v_cndmask_b32 v[\vQuotient], v[\vQuotient], v[\vTmp0], s[\sTmp:\sTmp+1] // 
v_mul_hi_u32 v[\vQuotient], v[\vQuotient], v[\vDividend] // 
v_mul_lo_u32 v[\vRemainder], v[\vQuotient], v[\vDivisor] // 
_v_sub_co_u32 v[\vTmp0], vcc, v[\vDividend], v[\vRemainder] // 
v_cmp_ge_u32 s[\sTmp:\sTmp+1], v[\vDividend], v[\vRemainder] // 
_v_add_co_u32 v[\vRemainder], vcc, 0x1, v[\vQuotient] // 
_v_add_co_u32 v[\vTmp1], vcc, -1, v[\vQuotient]    // 
v_cmp_le_u32 vcc, v[\vDivisor], v[\vTmp0]          // 
s_and_b64 vcc, s[\sTmp:\sTmp+1], vcc               // 
v_cndmask_b32 v[\vQuotient], v[\vQuotient], v[\vRemainder], vcc // 
v_cndmask_b32 v[\vQuotient], v[\vTmp1], v[\vQuotient], s[\sTmp:\sTmp+1] // 
v_cmp_ne_i32 vcc, 0x0, v[\vDivisor]                // 
v_cndmask_b32 v[\vQuotient], -1, v[\vQuotient], vcc // final result
v_mul_lo_u32 v[\vRemainder], v[\vQuotient], v[\vDivisor] // 
_v_sub_co_u32 v[\vRemainder], vcc, v[\vDividend], v[\vRemainder] // final result
.endm


	;; [unrolled: 1-line block ×3, first 2 shown]
/******************************************/
/* Allocate Resources                     */
/******************************************/

Cijk_Ailk_Bjlk_SB_MT32x32x128_MI16x16x4x1_SN_1LDSB1_APM1_AF0EM1_AF1EM1_AMAS0_ASGT_ASLT097_1385_ASEM1_BL1_BS1_CLR0_DTVA0_DTVB0_ETSP_EPS1_ELFLR0_EMLL0_FSSC10_FL1_GLVWA1_GLVWB2_GRCGA1_GRCGB1_GRVWn1_GSU32_GSUAMB_GLS0_IU1_K1_LBSPPA0_LBSPPB0_LPA16_LPB0_LRVW1_MIAV0_MKFGSU256_NTA0_NTB0_NTC0_NTD0_NEPBS0_NLCA1_NLCB1_ONLL1_PK0_PGR2_PLR9_PKA0_SIA3_SS1_SU0_SUM0_SUS0_SPO1_SRVW0_SSO8_SVW1_TSGRA0_TSGRB0_TT2_32_TLDS0_UMLDSA0_UMLDSB0_USFGROn1_VAW1_VSn1_VW1_VWB2_VFLRP0_WSGRA0_WSGRB0_WG16_4_4_WGM6_preloaded: // Kernel start when preloading
s_setprio 3                                        // optimization store

/* Load Kernel Args */
_s_load_b512 s[28:43], s[sgprKernArgAddress:sgprKernArgAddress+1], 0x0 // 
_s_load_b256 s[44:51], s[sgprKernArgAddress:sgprKernArgAddress+1], 0x40 // 
_s_load_b128 s[52:55], s[sgprKernArgAddress:sgprKernArgAddress+1], 0x60 // 
_s_load_b64 s[56:57], s[sgprKernArgAddress:sgprKernArgAddress+1], 0x70 // 
_s_load_b32 s58, s[sgprKernArgAddress:sgprKernArgAddress+1], 0x78 // 
s_mov_b32 m0, 0xa000                               // LDS clamp at 40960 bytes
v_mov_b32 v[vgprSerial], v0                        // thread serial id

/******************************************/
/* Local Read Addresses                   */
/******************************************/


/* local read addresses: tile assignments a/b */

/*lr0I*/
v_and_b32 v1, 63, v[vgprSerial]                    // 0. thread id in wave: wtid = tid % wavelength(64)
v_and_b32 v0, 15, v1                               // 1. N offset: nIdx = wtid % MI_N(16)
                                                   // 1. N offset: nOffset = nIdx * nStride(1) (multiplier is 1, do nothing)
                                                   // 2. block offset: bnIdx = bnIdx % num1DBlocks(1) is 0. do nothing
                                                   // 4. apply VectorWidth: bnOffset = bnOffset * vw(1) (multiplier is 1, do nothing)
v_lshrrev_b32 v1, 4, v1                            // 5. K offset: kIdx = wtid / (MIN(16) * MIBB(1))
s_mov_b32 s9, 0x30                                 // 5. K offset: lrKOffset = kIdx * mStride(48)
v_mul_lo_u32 v1, s9, v1                            // 5. K offset: lrKOffset = kIdx * mStride(48)
_v_add_u32 v0, v1, v0                              // 6. offset in wave: lrOffset = bnOffset + lrKOffset
v_lshrrev_b32 v1, 6, v[vgprSerial]                 // LSU offset: sgid = Serial / subGroup(64)
s_mov_b32 s9, 0xc0                                 // LSU offset: lsuOffset = sgid * kInterval(4) *  strideK(48)
v_mul_lo_u32 v1, s9, v1                            // LSU offset: lsuOffset = sgid * kInterval(4) *  strideK(48)
_v_add_u32 v0, v1, v0                              // LSU offset: lrOffset += lsuOffset
/*lr1J*/
v_and_b32 v2, 63, v[vgprSerial]                    // 0. thread id in wave: wtid = tid % wavelength(64)
v_and_b32 v1, 15, v2                               // 1. N offset: nIdx = wtid % MI_N(16)
                                                   // 1. N offset: nOffset = nIdx * nStride(1) (multiplier is 1, do nothing)
                                                   // 2. block offset: bnIdx = bnIdx % num1DBlocks(1) is 0. do nothing
v_lshlrev_b32 v1, 0x1, v1                          // 4. apply VectorWidth: bnOffset = bnOffset * vw(2)
v_lshrrev_b32 v2, 4, v2                            // 5. K offset: kIdx = wtid / (MIN(16) * MIBB(1))
v_lshlrev_b32 v2, 0x5, v2                          // 5. K offset: lrKOffset = kIdx * mStride(32)
_v_add_u32 v1, v2, v1                              // 6. offset in wave: lrOffset = bnOffset + lrKOffset
v_lshrrev_b32 v2, 6, v[vgprSerial]                 // LSU offset: sgid = Serial / subGroup(64)
v_lshlrev_b32 v2, 0x7, v2                          // LSU offset: lsuOffset = sgid * kInterval(4) *  strideK(32)
_v_add_u32 v1, v2, v1                              // LSU offset: lrOffset += lsuOffset


/* local read addresses: final offsets a */

v_lshlrev_b32 v[vgprLocalReadAddrA], 0x2, v0       // Final Offset: offset = (lro0)*bpe


/* local read addresses: final offsets b */

v_lshlrev_b32 v[vgprLocalReadAddrB], 0x2, v1       // Final Offset: offset = (lro1)*bpe


/* local read addresses: declare addresses a */

/* N/A */


/* local read addresses: declare addresses b */

_v_add_co_u32 v[vgprLocalReadAddrB+0], vcc, 0x6000, v[vgprLocalReadAddrB+0] //  += LdsOffsetB (lower)


/* global read addresses: tile offset assignment a */

/* LVCA = 32 */
/* v0 = (local)groA-tile = serial%LVCA (note (wgA*MTA) will be added to SRD) */
/* v1 = groA-unroll = serial/LVCA */
v_lshrrev_b32 v1, 5, v[vgprSerial]                 // v1 = v[vgprSerial] / 32
v_and_b32 v0, 31, v[vgprSerial]                    // v0 = v[vgprSerial] % 32
/* gro-tile *= glvw */
                                                   // v0 = v0 * 1 (multiplier is 1, do nothing)
v_mov_b32 v2, v1                                   // copy for GlobalSplitU


/* global read addresses: tile offset assignment b */

/* LVCB = 16 */
/* v3 = (local)groB-tile = serial%LVCB (note (wgB*MTB) will be added to SRD) */
/* v4 = groB-unroll = serial/LVCB */
v_lshrrev_b32 v4, 4, v[vgprSerial]                 // v4 = v[vgprSerial] / 16
v_and_b32 v3, 15, v[vgprSerial]                    // v3 = v[vgprSerial] % 16
/* gro-tile *= glvw */
v_lshlrev_b32 v3, 0x1, v3                          // v3 = v3 * 2
v_mov_b32 v5, v4                                   // copy for GlobalSplitU


/******************************************/
/* Local Write Addresses                  */
/******************************************/

/* lwaTileAssignmentA = v0 */

/* lwaTileAssignmentB = v3 */

/* lwaUnrollAssignmentA = v2 */

/* lwaUnrollAssignmentB = v5 */


/* local write addresses: first offset a */

v_mul_u32_u24 v[vgprLocalWriteAddrA], 0x30, v2     // lwAL**(MTA + PAD)
_v_add_lshl_u32 v[vgprLocalWriteAddrA], v0, v[vgprLocalWriteAddrA], 0x2 // lwFOA = (lwAA + lwAL*(MT0I+PAD))*bpe


/* local write addresses: first offset b */

v_mul_u32_u24 v[vgprLocalWriteAddrB], 0x20, v5     // lwBL**(MTB + PAD)
_v_add_lshl_u32 v[vgprLocalWriteAddrB], v3, v[vgprLocalWriteAddrB], 0x2 // lwFOB = (lwBB + lwBL*(MT1J+PAD))*bpe
_v_add_co_u32 v[vgprLocalWriteAddrB], vcc, 0x6000, v[vgprLocalWriteAddrB] // lwFOB = lwB1J + lwBL*MT1J + LDS_OFFSET_B=6144*4


	;; [unrolled: 1-line block ×7, first 2 shown]
s_waitcnt lgkmcnt(0)                               // wait for 124 bytes of kern args
s_mov_b64 s[sgprSrdC+0:sgprSrdC+0+1], s[sgprAddressC+0:sgprAddressC+0+1] // copy addressC
s_mov_b64 s[sgprSrdD+0:sgprSrdD+0+1], s[sgprAddressD+0:sgprAddressD+0+1] // copy addressD
s_sub_u32 s[sgprSrdA+0], s[sgprAddressA+0], 4      // pre-pad to make room for possible pointer shift
s_subb_u32 s[sgprSrdA+1], s[sgprAddressA+1], 0     // pre-pad to make room for possible pointer shift
s_sub_u32 s[sgprSrdB+0], s[sgprAddressB+0], 8      // pre-pad to make room for possible pointer shift
s_subb_u32 s[sgprSrdB+1], s[sgprAddressB+1], 0     // pre-pad to make room for possible pointer shift

.set AddressD, UNDEF
.set AddressC, UNDEF
.set AddressA, UNDEF
.set AddressB, UNDEF

/* Short circuit condition if Alpha == 0, then sumDims=0 */
v_cmp_eq_f32 vcc, s[sgprAlpha], 0.0                // Alpha == 0.0f ?
s_cbranch_vccz label_AlphaNonZero                  // branch if alpha != 0
s_mov_b32 s[sgprSizesSum+0], 0x0                   // Set summation dim=0 if Alpha == 0
label_AlphaNonZero:


	;; [unrolled: 1-line block ×3, first 2 shown]
/******************************************/
/* Begin setupNewTile, isPap=False           */
/******************************************/


/* global read addresses: work-group */

/* graWorkGroup mapping */
// GSU-not-WGMapRR :nwg1 = (size1J + MT1J - 1) / MT1J;
s_mov_b32 s38, s[sgprWorkGroup1]                   // copying for divisor
s_lshr_b32 s[sgprWorkGroup1], s38, 5               // s[sgprWorkGroup1] = s38 / 32
s_and_b32 s[sgprGSUSumIdx], 31, s38                // s[sgprGSUSumIdx] = s38 % 32
s_mov_b32 s39, 0x15555556L                         // magic number for WGM==6
s_mul_hi_u32 s37, s[sgprWorkGroup1], s39           // s_magic mul
s_mul_i32 s36, s[sgprWorkGroup1], s39              // s_magic mul
s_lshr_b64 s[36:37], s[36:37], 31                  // sMagicDiv
s_mul_i32 s37, s36, 6                              // quotient * non-magic divisor
s_sub_u32 s37, s[sgprWorkGroup1], s37              // WorkGroup1=remainder
s_mul_i32 s37, s37, s[sgprNumWorkGroups0]          // (wg1 % WGM)*nwg0
s_add_u32 s37, s37, s[sgprWorkGroup0]              // wgSerial = wg0 + (wg1 % WGM)*nwg1
s_cmp_ge_u32 s36, s[sgprNumFullBlocks]             // blockId >= numFullBlocks ?
s_cmov_b32 s39, s[sgprMagicNumberWgmRemainder1]    // 
s_cselect_b32 s38, s[sgprWgmRemainder1], 6         // 
s_mul_hi_u32 s3, s37, s39                          // s_magic mul
s_mul_i32 s2, s37, s39                             // s_magic mul
s_lshr_b64 s[2:3], s[2:3], 31                      // sMagicDiv
s_mul_i32 s[sgprWorkGroup1], s[sgprWorkGroup0], s38 // quotient * non-magic divisor
s_sub_u32 s[sgprWorkGroup1], s37, s[sgprWorkGroup1] // WorkGroup1=remainder
s_mul_i32 s36, s36, 6                              // blockId * WGM
s_add_u32 s[sgprWorkGroup1], s[sgprWorkGroup1], s36 // wg1 += blockId * WGM


/* global read addresses: unroll assignment a */

/* v1 */


/* global read addresses: unroll assignment b */

/* v4 */


/* global read addresses: other free assignments */

/* s[sgprWorkGroup2] */


/* global read addresses: tile offsets a */

v_mov_b32 v6, v0                                   // groA0I_0


/* global read addresses: tile offsets b */

v_mov_b32 v7, v3                                   // groB1J_0


/* global read addresses: unroll offsets a */

v_mov_b32 v8, v1                                   // groAL_0
_v_add_co_u32 v9, vcc, 8, v8                       // groAL_1 + LSPA
_v_add_co_u32 v10, vcc, 8, v9                      // groAL_2 + LSPA
_v_add_co_u32 v11, vcc, 8, v10                     // groAL_3 + LSPA
_v_add_co_u32 v12, vcc, 8, v11                     // groAL_4 + LSPA
_v_add_co_u32 v13, vcc, 8, v12                     // groAL_5 + LSPA
_v_add_co_u32 v14, vcc, 8, v13                     // groAL_6 + LSPA
_v_add_co_u32 v15, vcc, 8, v14                     // groAL_7 + LSPA
_v_add_co_u32 v16, vcc, 8, v15                     // groAL_8 + LSPA
_v_add_co_u32 v17, vcc, 8, v16                     // groAL_9 + LSPA
_v_add_co_u32 v18, vcc, 8, v17                     // groAL_10 + LSPA
_v_add_co_u32 v19, vcc, 8, v18                     // groAL_11 + LSPA
_v_add_co_u32 v20, vcc, 8, v19                     // groAL_12 + LSPA
_v_add_co_u32 v21, vcc, 8, v20                     // groAL_13 + LSPA
_v_add_co_u32 v22, vcc, 8, v21                     // groAL_14 + LSPA
_v_add_co_u32 v23, vcc, 8, v22                     // groAL_15 + LSPA


/* global read addresses: unroll offsets b */

v_mov_b32 v24, v4                                  // groBL_0
_v_add_co_u32 v25, vcc, 16, v24                    // groBL_1 + LSPB
_v_add_co_u32 v26, vcc, 16, v25                    // groBL_2 + LSPB
_v_add_co_u32 v27, vcc, 16, v26                    // groBL_3 + LSPB
_v_add_co_u32 v28, vcc, 16, v27                    // groBL_4 + LSPB
_v_add_co_u32 v29, vcc, 16, v28                    // groBL_5 + LSPB
_v_add_co_u32 v30, vcc, 16, v29                    // groBL_6 + LSPB
_v_add_co_u32 v31, vcc, 16, v30                    // groBL_7 + LSPB


/* global read addresses: shift b */

s_mul_i32 s35, s[sgprWorkGroup1], 32               // WorkGroup[01] * MT
s_sub_u32 s35, s[sgprSizeJ], s35                   // edge = Size1J - WG*MT
s_sub_u32 s35, s35, 2                              // edge -= margin(2)
v_mov_b32 v32, s35                                 // edge vgpr = Size1J- WG*MT - margin(2)
v_min_i32 v7, v32, v7                              // offset = (offset < edge) ? offset(v7) : edge(v32)


/* global read addresses: final offsets a */

GLOBAL_OFFSET_A vgprGlobalReadOffsetA+0,  6,  8, 32 // gROA_0_0_0_0
GLOBAL_OFFSET_A vgprGlobalReadOffsetA+1,  6,  9, 32 // gROA_0_0_1_0
GLOBAL_OFFSET_A vgprGlobalReadOffsetA+2,  6, 10, 32 // gROA_0_0_2_0
GLOBAL_OFFSET_A vgprGlobalReadOffsetA+3,  6, 11, 32 // gROA_0_0_3_0
GLOBAL_OFFSET_A vgprGlobalReadOffsetA+4,  6, 12, 32 // gROA_0_0_4_0
GLOBAL_OFFSET_A vgprGlobalReadOffsetA+5,  6, 13, 32 // gROA_0_0_5_0
GLOBAL_OFFSET_A vgprGlobalReadOffsetA+6,  6, 14, 32 // gROA_0_0_6_0
GLOBAL_OFFSET_A vgprGlobalReadOffsetA+7,  6, 15, 32 // gROA_0_0_7_0
GLOBAL_OFFSET_A vgprGlobalReadOffsetA+8,  6, 16, 32 // gROA_0_0_8_0
GLOBAL_OFFSET_A vgprGlobalReadOffsetA+9,  6, 17, 32 // gROA_0_0_9_0
GLOBAL_OFFSET_A vgprGlobalReadOffsetA+10,  6, 18, 32 // gROA_0_0_10_0
GLOBAL_OFFSET_A vgprGlobalReadOffsetA+11,  6, 19, 32 // gROA_0_0_11_0
GLOBAL_OFFSET_A vgprGlobalReadOffsetA+12,  6, 20, 32 // gROA_0_0_12_0
GLOBAL_OFFSET_A vgprGlobalReadOffsetA+13,  6, 21, 32 // gROA_0_0_13_0
GLOBAL_OFFSET_A vgprGlobalReadOffsetA+14,  6, 22, 32 // gROA_0_0_14_0
GLOBAL_OFFSET_A vgprGlobalReadOffsetA+15,  6, 23, 32 // gROA_0_0_15_0


/* global read addresses: final offsets b */

GLOBAL_OFFSET_B vgprGlobalReadOffsetB+0,  7, 24, 8 // gROB_0_0_0_0
GLOBAL_OFFSET_B vgprGlobalReadOffsetB+1,  7, 25, 8 // gROB_0_0_1_0
GLOBAL_OFFSET_B vgprGlobalReadOffsetB+2,  7, 26, 8 // gROB_0_0_2_0
GLOBAL_OFFSET_B vgprGlobalReadOffsetB+3,  7, 27, 8 // gROB_0_0_3_0
GLOBAL_OFFSET_B vgprGlobalReadOffsetB+4,  7, 28, 8 // gROB_0_0_4_0
GLOBAL_OFFSET_B vgprGlobalReadOffsetB+5,  7, 29, 8 // gROB_0_0_5_0
GLOBAL_OFFSET_B vgprGlobalReadOffsetB+6,  7, 30, 8 // gROB_0_0_6_0
GLOBAL_OFFSET_B vgprGlobalReadOffsetB+7,  7, 31, 8 // gROB_0_0_7_0


/* global read addresses: addresses a */

/* max read offset = size[n] * stride[n-1] */
s_mul_hi_u32 s39, s[sgprWorkGroup0], 32            // WorkGroup[01] * MT
s_mul_i32 s38, s[sgprWorkGroup0], 32               // WorkGroup[01] * MT
s_mul_hi_u32 s37, 128, s[sgprGSUSumIdx]            // gsuOffset = DepthU*bpe*GSUSumIdx
s_mul_i32 s36, 128, s[sgprGSUSumIdx]               // gsuOffset = DepthU*bpe*GSUSumIdx
s_mul_hi_u32 s37, s36, s[sgprStrideAL]             // tlu=1, scaled unroll-offset by stride
s_mul_i32 s36, s36, s[sgprStrideAL]                // tlu=1, scaled unroll-offset by stride
s_add_u32 s38, s38, s36                            // accum GsuOffset term to tilestart
s_addc_u32 s39, s39, s37                           // accum GsuOffset term to tilestart
s_sub_u32 s[sgprShadowLimitA+0], s[sgprTensor2dSizeA], s38 // sub tileStart
s_subb_u32 s[sgprShadowLimitA+1], s[sgprTensor2dSizeA+1], s39 // sub tileStart
s_lshl_b64 s[sgprShadowLimitA:sgprShadowLimitA+1], s[sgprShadowLimitA:sgprShadowLimitA+1], 0x2 // Set limit to use bytes
s_add_u32 s[sgprShadowLimitA+0], s[sgprShadowLimitA+0], 4 // extend limit for pre-pad
s_addc_u32 s[sgprShadowLimitA+1], s[sgprShadowLimitA+1], 0 // extend limit for pre-pad
s_cmp_eq_u32 s[sgprShadowLimitA+1], 0              // are we within 2^32?
s_cselect_b32 s[sgprSrdA+2], s[sgprShadowLimitA+0], BufferLimitA // Move shadow to real if we are within 2^32
s_mul_hi_u32 s37, s[sgprStrideAK], s[sgprWorkGroup2] // Stride*WG
s_mul_i32 s36, s[sgprStrideAK], s[sgprWorkGroup2]  // Stride*WG
s_add_u32 s38, s38, s36                            // accum wg term to tilestart
s_addc_u32 s39, s39, s37                           // accum wg term to tilestart
s_lshl_b64 s[38:39], s[38:39], 0x2                 // tileStart *= BPE
s_add_u32 s[sgprSrdA+0], s[sgprSrdA+0], s38        // SRD base = Address+ tileStart0
s_addc_u32 s[sgprSrdA+1], s[sgprSrdA+1], s39       // SRD base = Address+ tileStart1
s_mov_b32 s[sgprSrdA+3], Srd127_96                 // Set bits 127_96 in SRD


/* global read addresses: addresses b */

/* max read offset = size[n] * stride[n-1] */
s_mul_hi_u32 s39, s[sgprWorkGroup1], 32            // WorkGroup[01] * MT
s_mul_i32 s38, s[sgprWorkGroup1], 32               // WorkGroup[01] * MT
s_mul_hi_u32 s37, 128, s[sgprGSUSumIdx]            // gsuOffset = DepthU*bpe*GSUSumIdx
s_mul_i32 s36, 128, s[sgprGSUSumIdx]               // gsuOffset = DepthU*bpe*GSUSumIdx
s_mul_hi_u32 s37, s36, s[sgprStrideBL]             // tlu=1, scaled unroll-offset by stride
s_mul_i32 s36, s36, s[sgprStrideBL]                // tlu=1, scaled unroll-offset by stride
s_add_u32 s38, s38, s36                            // accum GsuOffset term to tilestart
s_addc_u32 s39, s39, s37                           // accum GsuOffset term to tilestart
s_sub_u32 s[sgprShadowLimitB+0], s[sgprTensor2dSizeB], s38 // sub tileStart
s_subb_u32 s[sgprShadowLimitB+1], s[sgprTensor2dSizeB+1], s39 // sub tileStart
s_lshl_b64 s[sgprShadowLimitB:sgprShadowLimitB+1], s[sgprShadowLimitB:sgprShadowLimitB+1], 0x2 // Set limit to use bytes
s_add_u32 s[sgprShadowLimitB+0], s[sgprShadowLimitB+0], 8 // extend limit for pre-pad
s_addc_u32 s[sgprShadowLimitB+1], s[sgprShadowLimitB+1], 0 // extend limit for pre-pad
s_cmp_eq_u32 s[sgprShadowLimitB+1], 0              // are we within 2^32?
s_cselect_b32 s[sgprSrdB+2], s[sgprShadowLimitB+0], BufferLimitB // Move shadow to real if we are within 2^32
s_mul_hi_u32 s37, s[sgprStrideBK], s[sgprWorkGroup2] // Stride*WG
s_mul_i32 s36, s[sgprStrideBK], s[sgprWorkGroup2]  // Stride*WG
s_add_u32 s38, s38, s36                            // accum wg term to tilestart
s_addc_u32 s39, s39, s37                           // accum wg term to tilestart
s_lshl_b64 s[38:39], s[38:39], 0x2                 // tileStart *= BPE
s_add_u32 s[sgprSrdB+0], s[sgprSrdB+0], s38        // SRD base = Address+ tileStart0
s_addc_u32 s[sgprSrdB+1], s[sgprSrdB+1], s39       // SRD base = Address+ tileStart1
s_mov_b32 s[sgprSrdB+3], Srd127_96                 // Set bits 127_96 in SRD


/* global read addresses: increments a */

s_mul_i32 s[sgprGlobalReadIncsA+0], DepthU*BpeA*32, s[sgprStrideAL] // incrA unrollIdx)


/* global read addresses: increments b */

s_mul_i32 s[sgprGlobalReadIncsB+0], DepthU*BpeB*32, s[sgprStrideBL] // incrB unrollIdx)

/* declare loop num iterations */


s_lshr_b32 s[sgprLoopCounterL], s[sgprSizesSum+0], 7 // s[sgprLoopCounterL] = s[sgprSizesSum+0] / 128
s_mov_b32 s38, s[sgprLoopCounterL]                 // copy for divide IterGsu
s_lshr_b32 s[sgprLoopCounterL], s38, 5             // s[sgprLoopCounterL] = s38 / 32
s_and_b32 s[sgprGSUSumIdx+1], 31, s38              // s[sgprGSUSumIdx+1] = s38 % 32
s_add_u32 s36, 1, s[sgprLoopCounterL]              // tmp<-numIterMyWg+
s_cmp_lt_u32 s[sgprGSUSumIdx], s[sgprGSUSumIdx+1]  // gsuSumIdx < numIterPerWgRemainder
s_cmov_b32 s[sgprLoopCounterL], s36                // numIterMyWg++ if needed
s_mov_b32 s[sgprOrigLoopCounter], s[sgprLoopCounterL] // copy loop counter

/* local read addresses: init pointers a */


/* localReadInitPointers */

/* local read addresses: init pointers b */


/* localReadInitPointers */


/* prefetch: global -> local */

s_cmp_eq_u32 s[sgprLoopCounterL], 0                // at last iteration?
s_setprio 0                                        // optimization store
s_cbranch_scc1 ShadowInitStart_10                  // skip to ShadowInitStart iter b/c numIter==0


_buffer_load_b32 v[vgprG2LA+0], v[vgprGlobalReadOffsetA+0], s[sgprSrdA:sgprSrdA+3], 0, offen offset:0 // G -> Reg 0_0_0_0
_buffer_load_b32 v[vgprG2LA+1], v[vgprGlobalReadOffsetA+1], s[sgprSrdA:sgprSrdA+3], 0, offen offset:0 // G -> Reg 0_0_1_0
_buffer_load_b32 v[vgprG2LA+2], v[vgprGlobalReadOffsetA+2], s[sgprSrdA:sgprSrdA+3], 0, offen offset:0 // G -> Reg 0_0_2_0
_buffer_load_b32 v[vgprG2LA+3], v[vgprGlobalReadOffsetA+3], s[sgprSrdA:sgprSrdA+3], 0, offen offset:0 // G -> Reg 0_0_3_0
_buffer_load_b32 v[vgprG2LA+4], v[vgprGlobalReadOffsetA+4], s[sgprSrdA:sgprSrdA+3], 0, offen offset:0 // G -> Reg 0_0_4_0
_buffer_load_b32 v[vgprG2LA+5], v[vgprGlobalReadOffsetA+5], s[sgprSrdA:sgprSrdA+3], 0, offen offset:0 // G -> Reg 0_0_5_0
_buffer_load_b32 v[vgprG2LA+6], v[vgprGlobalReadOffsetA+6], s[sgprSrdA:sgprSrdA+3], 0, offen offset:0 // G -> Reg 0_0_6_0
_buffer_load_b32 v[vgprG2LA+7], v[vgprGlobalReadOffsetA+7], s[sgprSrdA:sgprSrdA+3], 0, offen offset:0 // G -> Reg 0_0_7_0
_buffer_load_b32 v[vgprG2LA+8], v[vgprGlobalReadOffsetA+8], s[sgprSrdA:sgprSrdA+3], 0, offen offset:0 // G -> Reg 0_0_8_0
_buffer_load_b32 v[vgprG2LA+9], v[vgprGlobalReadOffsetA+9], s[sgprSrdA:sgprSrdA+3], 0, offen offset:0 // G -> Reg 0_0_9_0
_buffer_load_b32 v[vgprG2LA+10], v[vgprGlobalReadOffsetA+10], s[sgprSrdA:sgprSrdA+3], 0, offen offset:0 // G -> Reg 0_0_10_0
_buffer_load_b32 v[vgprG2LA+11], v[vgprGlobalReadOffsetA+11], s[sgprSrdA:sgprSrdA+3], 0, offen offset:0 // G -> Reg 0_0_11_0
_buffer_load_b32 v[vgprG2LA+12], v[vgprGlobalReadOffsetA+12], s[sgprSrdA:sgprSrdA+3], 0, offen offset:0 // G -> Reg 0_0_12_0
_buffer_load_b32 v[vgprG2LA+13], v[vgprGlobalReadOffsetA+13], s[sgprSrdA:sgprSrdA+3], 0, offen offset:0 // G -> Reg 0_0_13_0
_buffer_load_b32 v[vgprG2LA+14], v[vgprGlobalReadOffsetA+14], s[sgprSrdA:sgprSrdA+3], 0, offen offset:0 // G -> Reg 0_0_14_0
_buffer_load_b32 v[vgprG2LA+15], v[vgprGlobalReadOffsetA+15], s[sgprSrdA:sgprSrdA+3], 0, offen offset:0 // G -> Reg 0_0_15_0


_buffer_load_b64 v[vgprG2LB+0:vgprG2LB+0+1], v[vgprGlobalReadOffsetB+0], s[sgprSrdB:sgprSrdB+3], 0, offen offset:0 // G -> Reg 0_0_0_0
_buffer_load_b64 v[vgprG2LB+2:vgprG2LB+2+1], v[vgprGlobalReadOffsetB+1], s[sgprSrdB:sgprSrdB+3], 0, offen offset:0 // G -> Reg 0_0_1_0
_buffer_load_b64 v[vgprG2LB+4:vgprG2LB+4+1], v[vgprGlobalReadOffsetB+2], s[sgprSrdB:sgprSrdB+3], 0, offen offset:0 // G -> Reg 0_0_2_0
_buffer_load_b64 v[vgprG2LB+6:vgprG2LB+6+1], v[vgprGlobalReadOffsetB+3], s[sgprSrdB:sgprSrdB+3], 0, offen offset:0 // G -> Reg 0_0_3_0
_buffer_load_b64 v[vgprG2LB+8:vgprG2LB+8+1], v[vgprGlobalReadOffsetB+4], s[sgprSrdB:sgprSrdB+3], 0, offen offset:0 // G -> Reg 0_0_4_0
_buffer_load_b64 v[vgprG2LB+10:vgprG2LB+10+1], v[vgprGlobalReadOffsetB+5], s[sgprSrdB:sgprSrdB+3], 0, offen offset:0 // G -> Reg 0_0_5_0
_buffer_load_b64 v[vgprG2LB+12:vgprG2LB+12+1], v[vgprGlobalReadOffsetB+6], s[sgprSrdB:sgprSrdB+3], 0, offen offset:0 // G -> Reg 0_0_6_0
_buffer_load_b64 v[vgprG2LB+14:vgprG2LB+14+1], v[vgprGlobalReadOffsetB+7], s[sgprSrdB:sgprSrdB+3], 0, offen offset:0 // G -> Reg 0_0_7_0


/* global read inc A loopL */
s_add_u32 s[sgprSrdA+0], s[sgprSrdA+0], s[sgprGlobalReadIncsA+0] // gra SRD += inc(lower)
s_addc_u32  s[sgprSrdA+1], s[sgprSrdA+1], 0        // gra SRD += inc(upper)
s_sub_u32 s[sgprShadowLimitA+0], s[sgprShadowLimitA+0], s[sgprGlobalReadIncsA+0] // limit -= inc)
s_subb_u32 s[sgprShadowLimitA+1], s[sgprShadowLimitA+1], 0 // limit -= inc)
s_cmp_eq_u32 s[sgprShadowLimitA+1], 0              // are we within 2^32?
s_cmov_b32 s[sgprSrdA+2], s[sgprShadowLimitA+0]    // Move shadow to real if we are within 2^32

/* global read inc B loopL */
s_add_u32 s[sgprSrdB+0], s[sgprSrdB+0], s[sgprGlobalReadIncsB+0] // gra SRD += inc(lower)
s_addc_u32  s[sgprSrdB+1], s[sgprSrdB+1], 0        // gra SRD += inc(upper)
s_sub_u32 s[sgprShadowLimitB+0], s[sgprShadowLimitB+0], s[sgprGlobalReadIncsB+0] // limit -= inc)
s_subb_u32 s[sgprShadowLimitB+1], s[sgprShadowLimitB+1], 0 // limit -= inc)
s_cmp_eq_u32 s[sgprShadowLimitB+1], 0              // are we within 2^32?
s_cmov_b32 s[sgprSrdB+2], s[sgprShadowLimitB+0]    // Move shadow to real if we are within 2^32


/******************************************/
/* End setupNewTile, isPap=False             */
/******************************************/

ShadowInitStart_10: // 

s_mov_b32 s[sgprSrdD+2], BufferOOB                 // 
s_mov_b32 s[sgprSrdD+3], Srd127_96                 // Set bits 127_96 in post-loop SRD

s_mov_b32 s[sgprSrdC+2], BufferOOB                 // 
s_mov_b32 s[sgprSrdC+3], Srd127_96                 // Set bits 127_96 in post-loop SRD


s_mul_i32 s38, MT1, s[sgprWorkGroup1]              // <- wg1*MT1
s_mul_hi_u32 s37, s38, s[sgprStrideC1J]            // CScale s38 by Stride
s_mul_i32 s36, s38, s[sgprStrideC1J]               // CScale s38 by Stride
s_lshl_b64 s[36:37], s[36:37], 2                   // scale by bpe
s_add_u32 s[sgprSrdC+0], s[sgprSrdC+0], s36        // add lo to SRD
s_addc_u32 s[sgprSrdC+1], s[sgprSrdC+1], s37       // add hi to SRD
s_mul_hi_u32 s37, s38, s[sgprStrideD1J]            // Scale s38 by Stride
s_mul_i32 s36, s38, s[sgprStrideD1J]               // Scale s38 by Stride
s_lshl_b64 s[36:37], s[36:37], 2                   // scale by bpe
s_add_u32 s[sgprSrdD+0], s[sgprSrdD+0], s36        // add lo to SRD
s_addc_u32 s[sgprSrdD+1], s[sgprSrdD+1], s37       // add hi to SRD

s_mul_hi_u32 s37, s[sgprWorkGroup2], s[sgprStrideCK] // CScale s[sgprWorkGroup2] by Stride
s_mul_i32 s36, s[sgprWorkGroup2], s[sgprStrideCK]  // CScale s[sgprWorkGroup2] by Stride
s_lshl_b64 s[36:37], s[36:37], 2                   // scale by bpe
s_add_u32 s[sgprSrdC+0], s[sgprSrdC+0], s36        // add lo to SRD
s_addc_u32 s[sgprSrdC+1], s[sgprSrdC+1], s37       // add hi to SRD
s_mul_hi_u32 s37, s[sgprWorkGroup2], s[sgprStrideDK] // Scale s[sgprWorkGroup2] by Stride
s_mul_i32 s36, s[sgprWorkGroup2], s[sgprStrideDK]  // Scale s[sgprWorkGroup2] by Stride
s_lshl_b64 s[36:37], s[36:37], 2                   // scale by bpe
s_add_u32 s[sgprSrdD+0], s[sgprSrdD+0], s36        // add lo to SRD
s_addc_u32 s[sgprSrdD+1], s[sgprSrdD+1], s37       // add hi to SRD

// GSU Output Buffer offset: Free0 + (Free1-1)*StrideC1J + (Free2-1)*StrideCK * GSUIdx * bpe
s_mul_hi_u32 s11, s[sgprSizesFree+0], s[sgprGSUSumIdx] // Free0
s_mul_i32 s10, s[sgprSizesFree+0], s[sgprGSUSumIdx] // Free0
s_sub_u32 s35, s[sgprSizesFree+1], 1               // Free1
s_mul_i32 s35, s35, s[sgprGSUSumIdx]               // Free1
s_mul_hi_u32 s61, s35, s[sgprStrideC1J]            // Free1
s_mul_i32 s60, s35, s[sgprStrideC1J]               // Free1
s_add_u32 s10, s10, s60                            // Free1
s_addc_u32 s11, s11, s61                           // Free1
s_sub_u32 s35, s[sgprSizesFree+2], 1               // Free2
s_mul_i32 s35, s35, s[sgprGSUSumIdx]               // Free2
s_mul_hi_u32 s61, s35, s[sgprStrideCK]             // Free2
s_mul_i32 s60, s35, s[sgprStrideCK]                // Free2
s_add_u32 s10, s10, s60                            // Free2
s_addc_u32 s11, s11, s61                           // Free2
s_lshl_b64 s[10:11], s[10:11], 2                   // scale by bpe
s_add_u32 s[sgprSrdD+0], s[sgprSrdD+0], s10        // add lo GSU offset to SRD
s_addc_u32 s[sgprSrdD+1], s[sgprSrdD+1], s11       // add hi GSU offset to SRD


/* initC: remove C-tile 0-16 from pool */

/* initC: remove AB-tile 16-48 from pool */
v_accvgpr_write acc0, 0x0                          // initC
v_accvgpr_write acc1, 0x0                          // initC
v_accvgpr_write acc2, 0x0                          // initC
v_accvgpr_write acc3, 0x0                          // initC
v_accvgpr_write acc4, 0x0                          // initC
v_accvgpr_write acc5, 0x0                          // initC
v_accvgpr_write acc6, 0x0                          // initC
v_accvgpr_write acc7, 0x0                          // initC
v_accvgpr_write acc8, 0x0                          // initC
v_accvgpr_write acc9, 0x0                          // initC
v_accvgpr_write acc10, 0x0                         // initC
v_accvgpr_write acc11, 0x0                         // initC
v_accvgpr_write acc12, 0x0                         // initC
v_accvgpr_write acc13, 0x0                         // initC
v_accvgpr_write acc14, 0x0                         // initC
v_accvgpr_write acc15, 0x0                         // initC

s_cmp_eq_u32 s[sgprLoopCounterL], 0                // at last iteration?

/* after InitC, skip to end of prefetch last iter if numIter==0 */
s_cbranch_scc0 label_NoBranch_11                   // Only branch on scc1
s_getpc_B64 s[36:37]                               // addr of next instr
s_add_i32 s38, PrefetchGlobalLastIterEnd_5, 0x4    // target branch offset
s_add_u32 s36, s36, s38                            // add target branch offset
s_addc_u32 s37, s37, 0                             // add high and carry
s_setpc_b64 s[36:37]                               // branch to PrefetchGlobalLastIterEnd_5
label_NoBranch_11:

s_waitcnt vmcnt(0)                                 // lgkmcnt=-1 vmcnt=0 8wait for global read


/* local write a */
_ds_store_b32 v[vgprLocalWriteAddrA], v[vgprG2LA+0] offset:0 // lwoA_0_0_0_0 = (0*LSCA) + (0*LSPA)(*MT0I+PAD) = 0
_ds_store_b32 v[vgprLocalWriteAddrA], v[vgprG2LA+1] offset:1536 // lwoA_0_0_1_0 = (0*LSCA) + (1*LSPA)(*MT0I+PAD) = 1536
_ds_store_b32 v[vgprLocalWriteAddrA], v[vgprG2LA+2] offset:3072 // lwoA_0_0_2_0 = (0*LSCA) + (2*LSPA)(*MT0I+PAD) = 3072
_ds_store_b32 v[vgprLocalWriteAddrA], v[vgprG2LA+3] offset:4608 // lwoA_0_0_3_0 = (0*LSCA) + (3*LSPA)(*MT0I+PAD) = 4608
_ds_store_b32 v[vgprLocalWriteAddrA], v[vgprG2LA+4] offset:6144 // lwoA_0_0_4_0 = (0*LSCA) + (4*LSPA)(*MT0I+PAD) = 6144
_ds_store_b32 v[vgprLocalWriteAddrA], v[vgprG2LA+5] offset:7680 // lwoA_0_0_5_0 = (0*LSCA) + (5*LSPA)(*MT0I+PAD) = 7680
_ds_store_b32 v[vgprLocalWriteAddrA], v[vgprG2LA+6] offset:9216 // lwoA_0_0_6_0 = (0*LSCA) + (6*LSPA)(*MT0I+PAD) = 9216
_ds_store_b32 v[vgprLocalWriteAddrA], v[vgprG2LA+7] offset:10752 // lwoA_0_0_7_0 = (0*LSCA) + (7*LSPA)(*MT0I+PAD) = 10752
_ds_store_b32 v[vgprLocalWriteAddrA], v[vgprG2LA+8] offset:12288 // lwoA_0_0_8_0 = (0*LSCA) + (8*LSPA)(*MT0I+PAD) = 12288
_ds_store_b32 v[vgprLocalWriteAddrA], v[vgprG2LA+9] offset:13824 // lwoA_0_0_9_0 = (0*LSCA) + (9*LSPA)(*MT0I+PAD) = 13824
_ds_store_b32 v[vgprLocalWriteAddrA], v[vgprG2LA+10] offset:15360 // lwoA_0_0_10_0 = (0*LSCA) + (10*LSPA)(*MT0I+PAD) = 15360
_ds_store_b32 v[vgprLocalWriteAddrA], v[vgprG2LA+11] offset:16896 // lwoA_0_0_11_0 = (0*LSCA) + (11*LSPA)(*MT0I+PAD) = 16896
_ds_store_b32 v[vgprLocalWriteAddrA], v[vgprG2LA+12] offset:18432 // lwoA_0_0_12_0 = (0*LSCA) + (12*LSPA)(*MT0I+PAD) = 18432
_ds_store_b32 v[vgprLocalWriteAddrA], v[vgprG2LA+13] offset:19968 // lwoA_0_0_13_0 = (0*LSCA) + (13*LSPA)(*MT0I+PAD) = 19968
_ds_store_b32 v[vgprLocalWriteAddrA], v[vgprG2LA+14] offset:21504 // lwoA_0_0_14_0 = (0*LSCA) + (14*LSPA)(*MT0I+PAD) = 21504
_ds_store_b32 v[vgprLocalWriteAddrA], v[vgprG2LA+15] offset:23040 // lwoA_0_0_15_0 = (0*LSCA) + (15*LSPA)(*MT0I+PAD) = 23040

/* local write b */
_ds_store_b64 v[vgprLocalWriteAddrB], v[vgprG2LB+0:vgprG2LB+0+1] offset:0 // lwoB_0_0_0_0 = (0*LSCB) + (0*LSPB)(*MT1J+PAD) = 0
_ds_store_b64 v[vgprLocalWriteAddrB], v[vgprG2LB+2:vgprG2LB+2+1] offset:2048 // lwoB_0_0_1_0 = (0*LSCB) + (1*LSPB)(*MT1J+PAD) = 2048
_ds_store_b64 v[vgprLocalWriteAddrB], v[vgprG2LB+4:vgprG2LB+4+1] offset:4096 // lwoB_0_0_2_0 = (0*LSCB) + (2*LSPB)(*MT1J+PAD) = 4096
_ds_store_b64 v[vgprLocalWriteAddrB], v[vgprG2LB+6:vgprG2LB+6+1] offset:6144 // lwoB_0_0_3_0 = (0*LSCB) + (3*LSPB)(*MT1J+PAD) = 6144
_ds_store_b64 v[vgprLocalWriteAddrB], v[vgprG2LB+8:vgprG2LB+8+1] offset:8192 // lwoB_0_0_4_0 = (0*LSCB) + (4*LSPB)(*MT1J+PAD) = 8192
_ds_store_b64 v[vgprLocalWriteAddrB], v[vgprG2LB+10:vgprG2LB+10+1] offset:10240 // lwoB_0_0_5_0 = (0*LSCB) + (5*LSPB)(*MT1J+PAD) = 10240
_ds_store_b64 v[vgprLocalWriteAddrB], v[vgprG2LB+12:vgprG2LB+12+1] offset:12288 // lwoB_0_0_6_0 = (0*LSCB) + (6*LSPB)(*MT1J+PAD) = 12288
_ds_store_b64 v[vgprLocalWriteAddrB], v[vgprG2LB+14:vgprG2LB+14+1] offset:14336 // lwoB_0_0_7_0 = (0*LSCB) + (7*LSPB)(*MT1J+PAD) = 14336


/* local write swap a */


	;; [unrolled: 1-line block ×3, first 2 shown]
/* local write swap b */


	;; [unrolled: 1-line block ×4, first 2 shown]
s_cmp_eq_u32 s[sgprLoopCounterL] 0x1               // PGR=2 but only 1 loop
s_cbranch_scc1 label_0012                          // PGR=2 but only 1 loop


_buffer_load_b32 v[vgprG2LA+0], v[vgprGlobalReadOffsetA+0], s[sgprSrdA:sgprSrdA+3], 0, offen offset:0 // G -> Reg 0_0_0_0
_buffer_load_b32 v[vgprG2LA+1], v[vgprGlobalReadOffsetA+1], s[sgprSrdA:sgprSrdA+3], 0, offen offset:0 // G -> Reg 0_0_1_0
_buffer_load_b32 v[vgprG2LA+2], v[vgprGlobalReadOffsetA+2], s[sgprSrdA:sgprSrdA+3], 0, offen offset:0 // G -> Reg 0_0_2_0
_buffer_load_b32 v[vgprG2LA+3], v[vgprGlobalReadOffsetA+3], s[sgprSrdA:sgprSrdA+3], 0, offen offset:0 // G -> Reg 0_0_3_0
_buffer_load_b32 v[vgprG2LA+4], v[vgprGlobalReadOffsetA+4], s[sgprSrdA:sgprSrdA+3], 0, offen offset:0 // G -> Reg 0_0_4_0
_buffer_load_b32 v[vgprG2LA+5], v[vgprGlobalReadOffsetA+5], s[sgprSrdA:sgprSrdA+3], 0, offen offset:0 // G -> Reg 0_0_5_0
_buffer_load_b32 v[vgprG2LA+6], v[vgprGlobalReadOffsetA+6], s[sgprSrdA:sgprSrdA+3], 0, offen offset:0 // G -> Reg 0_0_6_0
_buffer_load_b32 v[vgprG2LA+7], v[vgprGlobalReadOffsetA+7], s[sgprSrdA:sgprSrdA+3], 0, offen offset:0 // G -> Reg 0_0_7_0
_buffer_load_b32 v[vgprG2LA+8], v[vgprGlobalReadOffsetA+8], s[sgprSrdA:sgprSrdA+3], 0, offen offset:0 // G -> Reg 0_0_8_0
_buffer_load_b32 v[vgprG2LA+9], v[vgprGlobalReadOffsetA+9], s[sgprSrdA:sgprSrdA+3], 0, offen offset:0 // G -> Reg 0_0_9_0
_buffer_load_b32 v[vgprG2LA+10], v[vgprGlobalReadOffsetA+10], s[sgprSrdA:sgprSrdA+3], 0, offen offset:0 // G -> Reg 0_0_10_0
_buffer_load_b32 v[vgprG2LA+11], v[vgprGlobalReadOffsetA+11], s[sgprSrdA:sgprSrdA+3], 0, offen offset:0 // G -> Reg 0_0_11_0
_buffer_load_b32 v[vgprG2LA+12], v[vgprGlobalReadOffsetA+12], s[sgprSrdA:sgprSrdA+3], 0, offen offset:0 // G -> Reg 0_0_12_0
_buffer_load_b32 v[vgprG2LA+13], v[vgprGlobalReadOffsetA+13], s[sgprSrdA:sgprSrdA+3], 0, offen offset:0 // G -> Reg 0_0_13_0
_buffer_load_b32 v[vgprG2LA+14], v[vgprGlobalReadOffsetA+14], s[sgprSrdA:sgprSrdA+3], 0, offen offset:0 // G -> Reg 0_0_14_0
_buffer_load_b32 v[vgprG2LA+15], v[vgprGlobalReadOffsetA+15], s[sgprSrdA:sgprSrdA+3], 0, offen offset:0 // G -> Reg 0_0_15_0


_buffer_load_b64 v[vgprG2LB+0:vgprG2LB+0+1], v[vgprGlobalReadOffsetB+0], s[sgprSrdB:sgprSrdB+3], 0, offen offset:0 // G -> Reg 0_0_0_0
_buffer_load_b64 v[vgprG2LB+2:vgprG2LB+2+1], v[vgprGlobalReadOffsetB+1], s[sgprSrdB:sgprSrdB+3], 0, offen offset:0 // G -> Reg 0_0_1_0
_buffer_load_b64 v[vgprG2LB+4:vgprG2LB+4+1], v[vgprGlobalReadOffsetB+2], s[sgprSrdB:sgprSrdB+3], 0, offen offset:0 // G -> Reg 0_0_2_0
_buffer_load_b64 v[vgprG2LB+6:vgprG2LB+6+1], v[vgprGlobalReadOffsetB+3], s[sgprSrdB:sgprSrdB+3], 0, offen offset:0 // G -> Reg 0_0_3_0
_buffer_load_b64 v[vgprG2LB+8:vgprG2LB+8+1], v[vgprGlobalReadOffsetB+4], s[sgprSrdB:sgprSrdB+3], 0, offen offset:0 // G -> Reg 0_0_4_0
_buffer_load_b64 v[vgprG2LB+10:vgprG2LB+10+1], v[vgprGlobalReadOffsetB+5], s[sgprSrdB:sgprSrdB+3], 0, offen offset:0 // G -> Reg 0_0_5_0
_buffer_load_b64 v[vgprG2LB+12:vgprG2LB+12+1], v[vgprGlobalReadOffsetB+6], s[sgprSrdB:sgprSrdB+3], 0, offen offset:0 // G -> Reg 0_0_6_0
_buffer_load_b64 v[vgprG2LB+14:vgprG2LB+14+1], v[vgprGlobalReadOffsetB+7], s[sgprSrdB:sgprSrdB+3], 0, offen offset:0 // G -> Reg 0_0_7_0

label_0012:                                        // 

s_waitcnt lgkmcnt(0)                               // lgkmcnt=0 vmcnt=-10prefetch wait for local write

// Skip force waitcnt0
s_barrier //


/* local read prefetch a */

_ds_load_b32 v[vgprValuA_X0_I0+0], v[vgprLocalReadAddrA] offset:0 // L -> Reg lro=0 swapByteOffset=0 ti=16 vIdx=0 rIdx=0 oIdx=0 buffer=0 iui=0
_ds_load_b32 v[vgprValuA_X0_I0+1], v[vgprLocalReadAddrA] offset:64 // L -> Reg lro=0 swapByteOffset=0 ti=16 vIdx=1 rIdx=0 oIdx=0 buffer=0 iui=0


/* local read prefetch b */

_ds_load_b32 v[vgprValuB_X0_I0+0], v[vgprLocalReadAddrB] offset:0 // L -> Reg lro=0 swapByteOffset=0 ti=32 vIdx=0 rIdx=0 oIdx=0 buffer=0 iui=0
_ds_load_b32 v[vgprValuB_X0_I0+1], v[vgprLocalReadAddrB] offset:4 // L -> Reg lro=0 swapByteOffset=0 ti=32 vIdx=0 rIdx=0 oIdx=0 buffer=0 iui=0


/* local read inc a */

/* N/A, lro->768 */
/* self.localReadDoCntA 1 self.localReadDoCntB 1 */


/* local read inc b */

/* N/A, lro->512 */
/* self.localReadDoCntA 1 self.localReadDoCntB 1 */


	;; [unrolled: 1-line block ×3, first 2 shown]
/******************************************/
/* Unrolled Loop(s) - Begin               */
/******************************************/

openLoopL_13:
s_cmp_eq_u32 s[sgprLoopCounterL], 0x1              // LoopCounterL < EndCounter
s_cbranch_scc1 label_0014                          // PGR=2 but only 1 loop, toPGR1
s_cmp_le_u32 s[sgprLoopCounterL], 0x2              // LoopCounterL < EndCounter
s_cbranch_scc1 LoopEndL_evenexit_4                 // do not enter LoopL
LoopBeginL_1:


/******************************************/
/* Unrolled Loop 1/2 - Begin              */
/******************************************/

label_0015: // LoopCopy1 


/* Begin Each Unroll: Check VGPR.checkin for INT8 LW */


	;; [unrolled: 1-line block ×3, first 2 shown]
/* iter 0 */

/*  grEndMfmaIndex:4, lwStartMfmaIndex:17, lwEndMfmaIndex:26  */
/*  numMfmaForLR:3, barrierMfmaIndex:28, LocalWritePerMfma:2.580 */
/*  mfmaIndex:0  */
s_waitcnt lgkmcnt(0)                               // lgkmcnt=0 vmcnt=-1wait for prior local read local write old=0, new=0 newLW=0 newLR=0
v_mfma_f32_16x16x4_f32 a[0+0:3+0], v[vgprValuB_X0_I0+0+0+0], v[vgprValuA_X0_I0+0+0+0], a[0:3]
/*  mfmaIndex:1  */
_ds_load_b32 v[vgprValuA_X1_I0+0], v[vgprLocalReadAddrA] offset:3072 // L -> Reg lro=768 swapByteOffset=0 ti=16 vIdx=0 rIdx=0 oIdx=0 buffer=1 iui=0
_ds_load_b32 v[vgprValuB_X1_I0+0], v[vgprLocalReadAddrB] offset:2048 // L -> Reg lro=512 swapByteOffset=0 ti=32 vIdx=0 rIdx=0 oIdx=0 buffer=1 iui=0

/* global read inc A loopL */
s_add_u32 s[sgprSrdA+0], s[sgprSrdA+0], s[sgprGlobalReadIncsA+0] // gra SRD += inc(lower)
s_addc_u32  s[sgprSrdA+1], s[sgprSrdA+1], 0        // gra SRD += inc(upper)
s_sub_u32 s[sgprShadowLimitA+0], s[sgprShadowLimitA+0], s[sgprGlobalReadIncsA+0] // limit -= inc)
v_mfma_f32_16x16x4_f32 a[4+0:7+0], v[vgprValuB_X0_I0+0+0+0], v[vgprValuA_X0_I0+1+0+0], a[4:7]
/*  mfmaIndex:2  */
_ds_load_b32 v[vgprValuA_X1_I0+1], v[vgprLocalReadAddrA] offset:3136 // L -> Reg lro=768 swapByteOffset=0 ti=16 vIdx=1 rIdx=0 oIdx=0 buffer=1 iui=0
_ds_load_b32 v[vgprValuB_X1_I0+1], v[vgprLocalReadAddrB] offset:2052 // L -> Reg lro=512 swapByteOffset=0 ti=32 vIdx=0 rIdx=0 oIdx=0 buffer=1 iui=0
/* localReadsVacancy: latencyLeft 1 */
s_subb_u32 s[sgprShadowLimitA+1], s[sgprShadowLimitA+1], 0 // limit -= inc)
s_cmp_eq_u32 s[sgprShadowLimitA+1], 0              // are we within 2^32?
s_cmov_b32 s[sgprSrdA+2], s[sgprShadowLimitA+0]    // Move shadow to real if we are within 2^32
v_mfma_f32_16x16x4_f32 a[12+0:15+0], v[vgprValuB_X0_I0+1+0+0], v[vgprValuA_X0_I0+1+0+0], a[12:15]
/*  mfmaIndex:3  */
/* localReadsVacancy: latencyLeft 5 */
_ds_load_b32 v[vgprValuA_X2_I0+0], v[vgprLocalReadAddrA] offset:6144 // L -> Reg lro=1536 swapByteOffset=0 ti=16 vIdx=0 rIdx=0 oIdx=0 buffer=2 iui=0
_ds_load_b32 v[vgprValuB_X2_I0+0], v[vgprLocalReadAddrB] offset:4096 // L -> Reg lro=1024 swapByteOffset=0 ti=32 vIdx=0 rIdx=0 oIdx=0 buffer=2 iui=0

/* global read inc B loopL */
s_add_u32 s[sgprSrdB+0], s[sgprSrdB+0], s[sgprGlobalReadIncsB+0] // gra SRD += inc(lower)
s_addc_u32  s[sgprSrdB+1], s[sgprSrdB+1], 0        // gra SRD += inc(upper)
s_sub_u32 s[sgprShadowLimitB+0], s[sgprShadowLimitB+0], s[sgprGlobalReadIncsB+0] // limit -= inc)
v_mfma_f32_16x16x4_f32 a[8+0:11+0], v[vgprValuB_X0_I0+1+0+0], v[vgprValuA_X0_I0+0+0+0], a[8:11]
/* numPrefetchIter=0 */
/* dataAtIterA=-1 numReadsIterA=1 skipReadsIterA=1 readsPerIterA=2 */
/* dataAtIterB=-1 numReadsIterB=1 skipReadsIterB=1 readsPerIterB=2 */


/* iter 1 */

/*  grEndMfmaIndex:4, lwStartMfmaIndex:17, lwEndMfmaIndex:26  */
/*  numMfmaForLR:3, barrierMfmaIndex:28, LocalWritePerMfma:2.580 */
/*  mfmaIndex:4  */
_ds_load_b32 v[vgprValuA_X2_I0+1], v[vgprLocalReadAddrA] offset:6208 // L -> Reg lro=1536 swapByteOffset=0 ti=16 vIdx=1 rIdx=0 oIdx=0 buffer=2 iui=0
_ds_load_b32 v[vgprValuB_X2_I0+1], v[vgprLocalReadAddrB] offset:4100 // L -> Reg lro=1024 swapByteOffset=0 ti=32 vIdx=0 rIdx=0 oIdx=0 buffer=2 iui=0
/* localReadsVacancy: latencyLeft 1 */
s_subb_u32 s[sgprShadowLimitB+1], s[sgprShadowLimitB+1], 0 // limit -= inc)
s_cmp_eq_u32 s[sgprShadowLimitB+1], 0              // are we within 2^32?
s_cmov_b32 s[sgprSrdB+2], s[sgprShadowLimitB+0]    // Move shadow to real if we are within 2^32
s_waitcnt lgkmcnt(4)                               // lgkmcnt=0 vmcnt=-1wait for prior local read local write old=2, new=4 newLW=0 newLR=2
v_mfma_f32_16x16x4_f32 a[0+0:3+0], v[vgprValuB_X1_I0+0+0+0], v[vgprValuA_X1_I0+0+0+0], a[0:3]
/*  mfmaIndex:5  */
/* localReadsVacancy: latencyLeft 5 */
_ds_load_b32 v[vgprValuA_X3_I0+0], v[vgprLocalReadAddrA] offset:9216 // L -> Reg lro=2304 swapByteOffset=0 ti=16 vIdx=0 rIdx=0 oIdx=0 buffer=3 iui=0
_ds_load_b32 v[vgprValuB_X3_I0+0], v[vgprLocalReadAddrB] offset:6144 // L -> Reg lro=1536 swapByteOffset=0 ti=32 vIdx=0 rIdx=0 oIdx=0 buffer=3 iui=0
v_mfma_f32_16x16x4_f32 a[4+0:7+0], v[vgprValuB_X1_I0+0+0+0], v[vgprValuA_X1_I0+1+0+0], a[4:7]
/*  mfmaIndex:6  */
/* localReadsVacancy: latencyLeft 5 */
_ds_load_b32 v[vgprValuA_X3_I0+1], v[vgprLocalReadAddrA] offset:9280 // L -> Reg lro=2304 swapByteOffset=0 ti=16 vIdx=1 rIdx=0 oIdx=0 buffer=3 iui=0
_ds_load_b32 v[vgprValuB_X3_I0+1], v[vgprLocalReadAddrB] offset:6148 // L -> Reg lro=1536 swapByteOffset=0 ti=32 vIdx=0 rIdx=0 oIdx=0 buffer=3 iui=0
v_mfma_f32_16x16x4_f32 a[12+0:15+0], v[vgprValuB_X1_I0+1+0+0], v[vgprValuA_X1_I0+1+0+0], a[12:15]
/*  mfmaIndex:7  */
/* localReadsVacancy: latencyLeft 5 */
_ds_load_b32 v[vgprValuA_X4_I0+0], v[vgprLocalReadAddrA] offset:12288 // L -> Reg lro=3072 swapByteOffset=0 ti=16 vIdx=0 rIdx=0 oIdx=0 buffer=4 iui=0
_ds_load_b32 v[vgprValuB_X4_I0+0], v[vgprLocalReadAddrB] offset:8192 // L -> Reg lro=2048 swapByteOffset=0 ti=32 vIdx=0 rIdx=0 oIdx=0 buffer=4 iui=0
v_mfma_f32_16x16x4_f32 a[8+0:11+0], v[vgprValuB_X1_I0+1+0+0], v[vgprValuA_X1_I0+0+0+0], a[8:11]
/* numPrefetchIter=0 */
/* dataAtIterA=0 numReadsIterA=2 skipReadsIterA=1 readsPerIterA=2 */
/* dataAtIterB=0 numReadsIterB=2 skipReadsIterB=1 readsPerIterB=2 */


/* iter 2 */

/*  grEndMfmaIndex:4, lwStartMfmaIndex:17, lwEndMfmaIndex:26  */
/*  numMfmaForLR:3, barrierMfmaIndex:28, LocalWritePerMfma:2.580 */
/*  mfmaIndex:8  */
/* localReadsVacancy: latencyLeft 5 */
_ds_load_b32 v[vgprValuA_X4_I0+1], v[vgprLocalReadAddrA] offset:12352 // L -> Reg lro=3072 swapByteOffset=0 ti=16 vIdx=1 rIdx=0 oIdx=0 buffer=4 iui=0
_ds_load_b32 v[vgprValuB_X4_I0+1], v[vgprLocalReadAddrB] offset:8196 // L -> Reg lro=2048 swapByteOffset=0 ti=32 vIdx=0 rIdx=0 oIdx=0 buffer=4 iui=0
s_waitcnt lgkmcnt(8)                               // lgkmcnt=0 vmcnt=-1wait for prior local read local write old=4, new=4 newLW=0 newLR=0
v_mfma_f32_16x16x4_f32 a[0+0:3+0], v[vgprValuB_X2_I0+0+0+0], v[vgprValuA_X2_I0+0+0+0], a[0:3]
/*  mfmaIndex:9  */
/* localReadsVacancy: latencyLeft 5 */
_ds_load_b32 v[vgprValuA_X5_I0+0], v[vgprLocalReadAddrA] offset:15360 // L -> Reg lro=3840 swapByteOffset=0 ti=16 vIdx=0 rIdx=0 oIdx=0 buffer=5 iui=0
_ds_load_b32 v[vgprValuB_X5_I0+0], v[vgprLocalReadAddrB] offset:10240 // L -> Reg lro=2560 swapByteOffset=0 ti=32 vIdx=0 rIdx=0 oIdx=0 buffer=5 iui=0
v_mfma_f32_16x16x4_f32 a[4+0:7+0], v[vgprValuB_X2_I0+0+0+0], v[vgprValuA_X2_I0+1+0+0], a[4:7]
/*  mfmaIndex:10  */
/* localReadsVacancy: latencyLeft 5 */
_ds_load_b32 v[vgprValuA_X5_I0+1], v[vgprLocalReadAddrA] offset:15424 // L -> Reg lro=3840 swapByteOffset=0 ti=16 vIdx=1 rIdx=0 oIdx=0 buffer=5 iui=0
_ds_load_b32 v[vgprValuB_X5_I0+1], v[vgprLocalReadAddrB] offset:10244 // L -> Reg lro=2560 swapByteOffset=0 ti=32 vIdx=0 rIdx=0 oIdx=0 buffer=5 iui=0
v_mfma_f32_16x16x4_f32 a[12+0:15+0], v[vgprValuB_X2_I0+1+0+0], v[vgprValuA_X2_I0+1+0+0], a[12:15]
/*  mfmaIndex:11  */
/* localReadsVacancy: latencyLeft 5 */
_ds_load_b32 v[vgprValuA_X6_I0+0], v[vgprLocalReadAddrA] offset:18432 // L -> Reg lro=4608 swapByteOffset=0 ti=16 vIdx=0 rIdx=0 oIdx=0 buffer=6 iui=0
_ds_load_b32 v[vgprValuB_X6_I0+0], v[vgprLocalReadAddrB] offset:12288 // L -> Reg lro=3072 swapByteOffset=0 ti=32 vIdx=0 rIdx=0 oIdx=0 buffer=6 iui=0
v_mfma_f32_16x16x4_f32 a[8+0:11+0], v[vgprValuB_X2_I0+1+0+0], v[vgprValuA_X2_I0+0+0+0], a[8:11]
/* numPrefetchIter=0 */
/* dataAtIterA=1 numReadsIterA=3 skipReadsIterA=1 readsPerIterA=2 */
/* dataAtIterB=1 numReadsIterB=3 skipReadsIterB=1 readsPerIterB=2 */


/* iter 3 */

/*  grEndMfmaIndex:4, lwStartMfmaIndex:17, lwEndMfmaIndex:26  */
/*  numMfmaForLR:3, barrierMfmaIndex:28, LocalWritePerMfma:2.580 */
/*  mfmaIndex:12  */
/* localReadsVacancy: latencyLeft 5 */
_ds_load_b32 v[vgprValuA_X6_I0+1], v[vgprLocalReadAddrA] offset:18496 // L -> Reg lro=4608 swapByteOffset=0 ti=16 vIdx=1 rIdx=0 oIdx=0 buffer=6 iui=0
_ds_load_b32 v[vgprValuB_X6_I0+1], v[vgprLocalReadAddrB] offset:12292 // L -> Reg lro=3072 swapByteOffset=0 ti=32 vIdx=0 rIdx=0 oIdx=0 buffer=6 iui=0
s_waitcnt lgkmcnt(10)                              // lgkmcnt=0 vmcnt=-1wait for prior local read local write old=2, new=2 newLW=0 newLR=0
v_mfma_f32_16x16x4_f32 a[0+0:3+0], v[vgprValuB_X3_I0+0+0+0], v[vgprValuA_X3_I0+0+0+0], a[0:3]
/*  mfmaIndex:13  */
/* localReadsVacancy: latencyLeft 5 */
_ds_load_b32 v[vgprValuA_X7_I0+0], v[vgprLocalReadAddrA] offset:21504 // L -> Reg lro=5376 swapByteOffset=0 ti=16 vIdx=0 rIdx=0 oIdx=0 buffer=7 iui=0
_ds_load_b32 v[vgprValuB_X7_I0+0], v[vgprLocalReadAddrB] offset:14336 // L -> Reg lro=3584 swapByteOffset=0 ti=32 vIdx=0 rIdx=0 oIdx=0 buffer=7 iui=0
v_mfma_f32_16x16x4_f32 a[4+0:7+0], v[vgprValuB_X3_I0+0+0+0], v[vgprValuA_X3_I0+1+0+0], a[4:7]
/*  mfmaIndex:14  */
/* localReadsVacancy: latencyLeft 5 */
_ds_load_b32 v[vgprValuA_X7_I0+1], v[vgprLocalReadAddrA] offset:21568 // L -> Reg lro=5376 swapByteOffset=0 ti=16 vIdx=1 rIdx=0 oIdx=0 buffer=7 iui=0
_ds_load_b32 v[vgprValuB_X7_I0+1], v[vgprLocalReadAddrB] offset:14340 // L -> Reg lro=3584 swapByteOffset=0 ti=32 vIdx=0 rIdx=0 oIdx=0 buffer=7 iui=0
v_mfma_f32_16x16x4_f32 a[12+0:15+0], v[vgprValuB_X3_I0+1+0+0], v[vgprValuA_X3_I0+1+0+0], a[12:15]
/*  mfmaIndex:15  */
/* localReadsVacancy: latencyLeft 5 */
v_mfma_f32_16x16x4_f32 a[8+0:11+0], v[vgprValuB_X3_I0+1+0+0], v[vgprValuA_X3_I0+0+0+0], a[8:11]
/* numPrefetchIter=0 */
/* dataAtIterA=2 numReadsIterA=4 skipReadsIterA=1 readsPerIterA=2 */
/* dataAtIterB=2 numReadsIterB=4 skipReadsIterB=1 readsPerIterB=2 */


/* iter 4 */

/*  grEndMfmaIndex:4, lwStartMfmaIndex:17, lwEndMfmaIndex:26  */
/*  numMfmaForLR:3, barrierMfmaIndex:28, LocalWritePerMfma:2.580 */
/*  mfmaIndex:16  */
/* localReadsVacancy: latencyLeft 5 */
/* 1 LDS buffer: read-sync-write */
s_waitcnt lgkmcnt(0)                               // 
s_barrier                                          // 
s_waitcnt lgkmcnt(12)                              // lgkmcnt=0 vmcnt=-1wait for prior local read local write old=4, new=4 newLW=0 newLR=0
v_mfma_f32_16x16x4_f32 a[0+0:3+0], v[vgprValuB_X4_I0+0+0+0], v[vgprValuA_X4_I0+0+0+0], a[0:3]
/*  mfmaIndex:17  */
s_setprio 3                                        // store optimization
/* sched write - iter 4 writesPerItem=1 */
s_waitcnt vmcnt(0)                                 // lgkmcnt=-1 vmcnt=0wait for global read before writing to local
_ds_store_b32 v[vgprLocalWriteAddrA], v[vgprG2LA+0] offset:0 // lwoA_0_0_0_0 = (0*LSCA) + (0*LSPA)(*MT0I+PAD) = 0
_buffer_load_b32 v[vgprG2LA+0], v[vgprGlobalReadOffsetA+0], s[sgprSrdA:sgprSrdA+3], 0, offen offset:0 // G -> Reg 0_0_0_0
/* sched write - iter 4 writesPerItem=1 */
s_waitcnt vmcnt(0)                                 // lgkmcnt=-1 vmcnt=0wait for global read before writing to local
_ds_store_b32 v[vgprLocalWriteAddrA], v[vgprG2LA+1] offset:1536 // lwoA_0_0_1_0 = (0*LSCA) + (1*LSPA)(*MT0I+PAD) = 1536
_buffer_load_b32 v[vgprG2LA+1], v[vgprGlobalReadOffsetA+1], s[sgprSrdA:sgprSrdA+3], 0, offen offset:0 // G -> Reg 0_0_1_0
/* sched write - iter 4 writesPerItem=1 */
s_waitcnt vmcnt(0)                                 // lgkmcnt=-1 vmcnt=0wait for global read before writing to local
_ds_store_b32 v[vgprLocalWriteAddrA], v[vgprG2LA+2] offset:3072 // lwoA_0_0_2_0 = (0*LSCA) + (2*LSPA)(*MT0I+PAD) = 3072
v_mfma_f32_16x16x4_f32 a[4+0:7+0], v[vgprValuB_X4_I0+0+0+0], v[vgprValuA_X4_I0+1+0+0], a[4:7]
/*  mfmaIndex:18  */
_buffer_load_b32 v[vgprG2LA+2], v[vgprGlobalReadOffsetA+2], s[sgprSrdA:sgprSrdA+3], 0, offen offset:0 // G -> Reg 0_0_2_0
/* sched write - iter 4 writesPerItem=1 */
s_waitcnt vmcnt(0)                                 // lgkmcnt=-1 vmcnt=0wait for global read before writing to local
_ds_store_b32 v[vgprLocalWriteAddrA], v[vgprG2LA+3] offset:4608 // lwoA_0_0_3_0 = (0*LSCA) + (3*LSPA)(*MT0I+PAD) = 4608
_buffer_load_b32 v[vgprG2LA+3], v[vgprGlobalReadOffsetA+3], s[sgprSrdA:sgprSrdA+3], 0, offen offset:0 // G -> Reg 0_0_3_0
/* sched write - iter 4 writesPerItem=1 */
s_waitcnt vmcnt(0)                                 // lgkmcnt=-1 vmcnt=0wait for global read before writing to local
_ds_store_b32 v[vgprLocalWriteAddrA], v[vgprG2LA+4] offset:6144 // lwoA_0_0_4_0 = (0*LSCA) + (4*LSPA)(*MT0I+PAD) = 6144
_buffer_load_b32 v[vgprG2LA+4], v[vgprGlobalReadOffsetA+4], s[sgprSrdA:sgprSrdA+3], 0, offen offset:0 // G -> Reg 0_0_4_0
/* sched write - iter 4 writesPerItem=1 */
s_waitcnt vmcnt(0)                                 // lgkmcnt=-1 vmcnt=0wait for global read before writing to local
_ds_store_b32 v[vgprLocalWriteAddrA], v[vgprG2LA+5] offset:7680 // lwoA_0_0_5_0 = (0*LSCA) + (5*LSPA)(*MT0I+PAD) = 7680
v_mfma_f32_16x16x4_f32 a[12+0:15+0], v[vgprValuB_X4_I0+1+0+0], v[vgprValuA_X4_I0+1+0+0], a[12:15]
/*  mfmaIndex:19  */
_buffer_load_b32 v[vgprG2LA+5], v[vgprGlobalReadOffsetA+5], s[sgprSrdA:sgprSrdA+3], 0, offen offset:0 // G -> Reg 0_0_5_0
/* sched write - iter 4 writesPerItem=1 */
s_waitcnt vmcnt(0)                                 // lgkmcnt=-1 vmcnt=0wait for global read before writing to local
_ds_store_b32 v[vgprLocalWriteAddrA], v[vgprG2LA+6] offset:9216 // lwoA_0_0_6_0 = (0*LSCA) + (6*LSPA)(*MT0I+PAD) = 9216
_buffer_load_b32 v[vgprG2LA+6], v[vgprGlobalReadOffsetA+6], s[sgprSrdA:sgprSrdA+3], 0, offen offset:0 // G -> Reg 0_0_6_0
/* sched write - iter 4 writesPerItem=1 */
s_waitcnt vmcnt(0)                                 // lgkmcnt=-1 vmcnt=0wait for global read before writing to local
_ds_store_b32 v[vgprLocalWriteAddrA], v[vgprG2LA+7] offset:10752 // lwoA_0_0_7_0 = (0*LSCA) + (7*LSPA)(*MT0I+PAD) = 10752
_buffer_load_b32 v[vgprG2LA+7], v[vgprGlobalReadOffsetA+7], s[sgprSrdA:sgprSrdA+3], 0, offen offset:0 // G -> Reg 0_0_7_0
v_mfma_f32_16x16x4_f32 a[8+0:11+0], v[vgprValuB_X4_I0+1+0+0], v[vgprValuA_X4_I0+0+0+0], a[8:11]
/* numPrefetchIter=0 */
/* dataAtIterA=3 numReadsIterA=5 skipReadsIterA=1 readsPerIterA=2 */
/* dataAtIterB=3 numReadsIterB=5 skipReadsIterB=1 readsPerIterB=2 */


/* iter 5 */

/*  grEndMfmaIndex:4, lwStartMfmaIndex:17, lwEndMfmaIndex:26  */
/*  numMfmaForLR:3, barrierMfmaIndex:28, LocalWritePerMfma:2.580 */
/*  mfmaIndex:20  */
/* sched write - iter 5 writesPerItem=1 */
s_waitcnt vmcnt(0)                                 // lgkmcnt=-1 vmcnt=0wait for global read before writing to local
_ds_store_b32 v[vgprLocalWriteAddrA], v[vgprG2LA+8] offset:12288 // lwoA_0_0_8_0 = (0*LSCA) + (8*LSPA)(*MT0I+PAD) = 12288
_buffer_load_b32 v[vgprG2LA+8], v[vgprGlobalReadOffsetA+8], s[sgprSrdA:sgprSrdA+3], 0, offen offset:0 // G -> Reg 0_0_8_0
/* sched write - iter 5 writesPerItem=1 */
s_waitcnt vmcnt(0)                                 // lgkmcnt=-1 vmcnt=0wait for global read before writing to local
_ds_store_b32 v[vgprLocalWriteAddrA], v[vgprG2LA+9] offset:13824 // lwoA_0_0_9_0 = (0*LSCA) + (9*LSPA)(*MT0I+PAD) = 13824
_buffer_load_b32 v[vgprG2LA+9], v[vgprGlobalReadOffsetA+9], s[sgprSrdA:sgprSrdA+3], 0, offen offset:0 // G -> Reg 0_0_9_0
/* sched write - iter 5 writesPerItem=1 */
s_waitcnt vmcnt(0)                                 // lgkmcnt=-1 vmcnt=0wait for global read before writing to local
_ds_store_b32 v[vgprLocalWriteAddrA], v[vgprG2LA+10] offset:15360 // lwoA_0_0_10_0 = (0*LSCA) + (10*LSPA)(*MT0I+PAD) = 15360
v_mfma_f32_16x16x4_f32 a[0+0:3+0], v[vgprValuB_X5_I0+0+0+0], v[vgprValuA_X5_I0+0+0+0], a[0:3]
/*  mfmaIndex:21  */
_buffer_load_b32 v[vgprG2LA+10], v[vgprGlobalReadOffsetA+10], s[sgprSrdA:sgprSrdA+3], 0, offen offset:0 // G -> Reg 0_0_10_0
/* sched write - iter 5 writesPerItem=1 */
s_waitcnt vmcnt(0)                                 // lgkmcnt=-1 vmcnt=0wait for global read before writing to local
_ds_store_b32 v[vgprLocalWriteAddrA], v[vgprG2LA+11] offset:16896 // lwoA_0_0_11_0 = (0*LSCA) + (11*LSPA)(*MT0I+PAD) = 16896
_buffer_load_b32 v[vgprG2LA+11], v[vgprGlobalReadOffsetA+11], s[sgprSrdA:sgprSrdA+3], 0, offen offset:0 // G -> Reg 0_0_11_0
/* sched write - iter 5 writesPerItem=1 */
s_waitcnt vmcnt(0)                                 // lgkmcnt=-1 vmcnt=0wait for global read before writing to local
_ds_store_b32 v[vgprLocalWriteAddrA], v[vgprG2LA+12] offset:18432 // lwoA_0_0_12_0 = (0*LSCA) + (12*LSPA)(*MT0I+PAD) = 18432
_buffer_load_b32 v[vgprG2LA+12], v[vgprGlobalReadOffsetA+12], s[sgprSrdA:sgprSrdA+3], 0, offen offset:0 // G -> Reg 0_0_12_0
v_mfma_f32_16x16x4_f32 a[4+0:7+0], v[vgprValuB_X5_I0+0+0+0], v[vgprValuA_X5_I0+1+0+0], a[4:7]
/*  mfmaIndex:22  */
/* sched write - iter 5 writesPerItem=1 */
s_waitcnt vmcnt(0)                                 // lgkmcnt=-1 vmcnt=0wait for global read before writing to local
_ds_store_b32 v[vgprLocalWriteAddrA], v[vgprG2LA+13] offset:19968 // lwoA_0_0_13_0 = (0*LSCA) + (13*LSPA)(*MT0I+PAD) = 19968
_buffer_load_b32 v[vgprG2LA+13], v[vgprGlobalReadOffsetA+13], s[sgprSrdA:sgprSrdA+3], 0, offen offset:0 // G -> Reg 0_0_13_0
/* sched write - iter 5 writesPerItem=1 */
s_waitcnt vmcnt(0)                                 // lgkmcnt=-1 vmcnt=0wait for global read before writing to local
_ds_store_b32 v[vgprLocalWriteAddrA], v[vgprG2LA+14] offset:21504 // lwoA_0_0_14_0 = (0*LSCA) + (14*LSPA)(*MT0I+PAD) = 21504
_buffer_load_b32 v[vgprG2LA+14], v[vgprGlobalReadOffsetA+14], s[sgprSrdA:sgprSrdA+3], 0, offen offset:0 // G -> Reg 0_0_14_0
/* sched write - iter 5 writesPerItem=1 */
s_waitcnt vmcnt(0)                                 // lgkmcnt=-1 vmcnt=0wait for global read before writing to local
_ds_store_b32 v[vgprLocalWriteAddrA], v[vgprG2LA+15] offset:23040 // lwoA_0_0_15_0 = (0*LSCA) + (15*LSPA)(*MT0I+PAD) = 23040
v_mfma_f32_16x16x4_f32 a[12+0:15+0], v[vgprValuB_X5_I0+1+0+0], v[vgprValuA_X5_I0+1+0+0], a[12:15]
/*  mfmaIndex:23  */
_buffer_load_b32 v[vgprG2LA+15], v[vgprGlobalReadOffsetA+15], s[sgprSrdA:sgprSrdA+3], 0, offen offset:0 // G -> Reg 0_0_15_0
/* sched write - iter 5 writesPerItem=1 */
s_waitcnt vmcnt(0)                                 // lgkmcnt=-1 vmcnt=0wait for global read before writing to local
_ds_store_b64 v[vgprLocalWriteAddrB], v[vgprG2LB+0:vgprG2LB+0+1] offset:0 // lwoB_0_0_0_0 = (0*LSCB) + (0*LSPB)(*MT1J+PAD) = 0
_buffer_load_b64 v[vgprG2LB+0:vgprG2LB+0+1], v[vgprGlobalReadOffsetB+0], s[sgprSrdB:sgprSrdB+3], 0, offen offset:0 // G -> Reg 0_0_0_0
/* sched write - iter 5 writesPerItem=1 */
s_waitcnt vmcnt(0)                                 // lgkmcnt=-1 vmcnt=0wait for global read before writing to local
_ds_store_b64 v[vgprLocalWriteAddrB], v[vgprG2LB+2:vgprG2LB+2+1] offset:2048 // lwoB_0_0_1_0 = (0*LSCB) + (1*LSPB)(*MT1J+PAD) = 2048
_buffer_load_b64 v[vgprG2LB+2:vgprG2LB+2+1], v[vgprGlobalReadOffsetB+1], s[sgprSrdB:sgprSrdB+3], 0, offen offset:0 // G -> Reg 0_0_1_0
/* sched write - iter 5 writesPerItem=1 */
s_waitcnt vmcnt(0)                                 // lgkmcnt=-1 vmcnt=0wait for global read before writing to local
_ds_store_b64 v[vgprLocalWriteAddrB], v[vgprG2LB+4:vgprG2LB+4+1] offset:4096 // lwoB_0_0_2_0 = (0*LSCB) + (2*LSPB)(*MT1J+PAD) = 4096
v_mfma_f32_16x16x4_f32 a[8+0:11+0], v[vgprValuB_X5_I0+1+0+0], v[vgprValuA_X5_I0+0+0+0], a[8:11]


/* iter 6 (reset local read pointers iteration)  (swap and reset local write pointers iteration)  (swap local read pointers iteration)  */

/*  grEndMfmaIndex:4, lwStartMfmaIndex:17, lwEndMfmaIndex:26  */
/*  numMfmaForLR:3, barrierMfmaIndex:28, LocalWritePerMfma:2.580 */
/*  mfmaIndex:24  */
_buffer_load_b64 v[vgprG2LB+4:vgprG2LB+4+1], v[vgprGlobalReadOffsetB+2], s[sgprSrdB:sgprSrdB+3], 0, offen offset:0 // G -> Reg 0_0_2_0
/* sched write - iter 6 writesPerItem=1 */
s_waitcnt vmcnt(0)                                 // lgkmcnt=-1 vmcnt=0wait for global read before writing to local
_ds_store_b64 v[vgprLocalWriteAddrB], v[vgprG2LB+6:vgprG2LB+6+1] offset:6144 // lwoB_0_0_3_0 = (0*LSCB) + (3*LSPB)(*MT1J+PAD) = 6144
_buffer_load_b64 v[vgprG2LB+6:vgprG2LB+6+1], v[vgprGlobalReadOffsetB+3], s[sgprSrdB:sgprSrdB+3], 0, offen offset:0 // G -> Reg 0_0_3_0
/* sched write - iter 6 writesPerItem=1 */
s_waitcnt vmcnt(0)                                 // lgkmcnt=-1 vmcnt=0wait for global read before writing to local
_ds_store_b64 v[vgprLocalWriteAddrB], v[vgprG2LB+8:vgprG2LB+8+1] offset:8192 // lwoB_0_0_4_0 = (0*LSCB) + (4*LSPB)(*MT1J+PAD) = 8192
_buffer_load_b64 v[vgprG2LB+8:vgprG2LB+8+1], v[vgprGlobalReadOffsetB+4], s[sgprSrdB:sgprSrdB+3], 0, offen offset:0 // G -> Reg 0_0_4_0
v_mfma_f32_16x16x4_f32 a[0+0:3+0], v[vgprValuB_X6_I0+0+0+0], v[vgprValuA_X6_I0+0+0+0], a[0:3]
/*  mfmaIndex:25  */
/* sched write - iter 6 writesPerItem=1 */
s_waitcnt vmcnt(0)                                 // lgkmcnt=-1 vmcnt=0wait for global read before writing to local
_ds_store_b64 v[vgprLocalWriteAddrB], v[vgprG2LB+10:vgprG2LB+10+1] offset:10240 // lwoB_0_0_5_0 = (0*LSCB) + (5*LSPB)(*MT1J+PAD) = 10240
_buffer_load_b64 v[vgprG2LB+10:vgprG2LB+10+1], v[vgprGlobalReadOffsetB+5], s[sgprSrdB:sgprSrdB+3], 0, offen offset:0 // G -> Reg 0_0_5_0
/* sched write - iter 6 writesPerItem=1 */
s_waitcnt vmcnt(0)                                 // lgkmcnt=-1 vmcnt=0wait for global read before writing to local
_ds_store_b64 v[vgprLocalWriteAddrB], v[vgprG2LB+12:vgprG2LB+12+1] offset:12288 // lwoB_0_0_6_0 = (0*LSCB) + (6*LSPB)(*MT1J+PAD) = 12288
_buffer_load_b64 v[vgprG2LB+12:vgprG2LB+12+1], v[vgprGlobalReadOffsetB+6], s[sgprSrdB:sgprSrdB+3], 0, offen offset:0 // G -> Reg 0_0_6_0
/* sched write - iter 6 writesPerItem=1 */
s_waitcnt vmcnt(0)                                 // lgkmcnt=-1 vmcnt=0wait for global read before writing to local
_ds_store_b64 v[vgprLocalWriteAddrB], v[vgprG2LB+14:vgprG2LB+14+1] offset:14336 // lwoB_0_0_7_0 = (0*LSCB) + (7*LSPB)(*MT1J+PAD) = 14336
v_mfma_f32_16x16x4_f32 a[4+0:7+0], v[vgprValuB_X6_I0+0+0+0], v[vgprValuA_X6_I0+1+0+0], a[4:7]
/*  mfmaIndex:26  */
_buffer_load_b64 v[vgprG2LB+14:vgprG2LB+14+1], v[vgprGlobalReadOffsetB+7], s[sgprSrdB:sgprSrdB+3], 0, offen offset:0 // G -> Reg 0_0_7_0

/* local write swap offsets a */

/* local write swap offsets b */
v_mfma_f32_16x16x4_f32 a[12+0:15+0], v[vgprValuB_X6_I0+1+0+0], v[vgprValuA_X6_I0+1+0+0], a[12:15]
/*  mfmaIndex:27  */

/* local read swap offsets a */

/* local read swap offsets b */

/* local read init pointers a */

/* localReadInitPointers */

/* local read init pointers b */

/* localReadInitPointers */
v_mfma_f32_16x16x4_f32 a[8+0:11+0], v[vgprValuB_X6_I0+1+0+0], v[vgprValuA_X6_I0+0+0+0], a[8:11]
s_setprio 0                                        // store optimization


/* iter 7 */

/*  grEndMfmaIndex:4, lwStartMfmaIndex:17, lwEndMfmaIndex:26  */
/*  numMfmaForLR:3, barrierMfmaIndex:28, LocalWritePerMfma:2.580 */
/*  mfmaIndex:28  */
s_waitcnt lgkmcnt(0)                               // lgkmcnt=0 vmcnt=-13wait for local write
// Skip force waitcnt0
s_barrier //
v_mfma_f32_16x16x4_f32 a[0+0:3+0], v[vgprValuB_X7_I0+0+0+0], v[vgprValuA_X7_I0+0+0+0], a[0:3]
/*  mfmaIndex:29  */
s_setprio 3                                        // store optimization
_ds_load_b32 v[vgprValuA_X0_I0+0], v[vgprLocalReadAddrA] offset:0 // L -> Reg lro=0 swapByteOffset=0 ti=16 vIdx=0 rIdx=0 oIdx=0 buffer=0 iui=0
_ds_load_b32 v[vgprValuB_X0_I0+0], v[vgprLocalReadAddrB] offset:0 // L -> Reg lro=0 swapByteOffset=0 ti=32 vIdx=0 rIdx=0 oIdx=0 buffer=0 iui=0
v_mfma_f32_16x16x4_f32 a[4+0:7+0], v[vgprValuB_X7_I0+0+0+0], v[vgprValuA_X7_I0+1+0+0], a[4:7]
/*  mfmaIndex:30  */
_ds_load_b32 v[vgprValuA_X0_I0+1], v[vgprLocalReadAddrA] offset:64 // L -> Reg lro=0 swapByteOffset=0 ti=16 vIdx=1 rIdx=0 oIdx=0 buffer=0 iui=0
_ds_load_b32 v[vgprValuB_X0_I0+1], v[vgprLocalReadAddrB] offset:4 // L -> Reg lro=0 swapByteOffset=0 ti=32 vIdx=0 rIdx=0 oIdx=0 buffer=0 iui=0
v_mfma_f32_16x16x4_f32 a[12+0:15+0], v[vgprValuB_X7_I0+1+0+0], v[vgprValuA_X7_I0+1+0+0], a[12:15]
/*  mfmaIndex:31  */
v_mfma_f32_16x16x4_f32 a[8+0:11+0], v[vgprValuB_X7_I0+1+0+0], v[vgprValuA_X7_I0+0+0+0], a[8:11]
s_setprio 0                                        // store optimization


/******************************************/
/* Unrolled Loop - End 1/2                */
/******************************************/


/* closeLoop loopL finalLoop=0 tailLoop=0 */
s_sub_u32 s[sgprLoopCounterL], s[sgprLoopCounterL], 1 // dec counterL
s_cmp_eq_i32 s[sgprLoopCounterL], 0x2              // counterL==2
s_cbranch_scc1 LoopEndL_oddexit_3                  // exit LoopL


/******************************************/
/* Unrolled Loop 2/2 - Begin              */
/******************************************/

label_0016: // LoopCopy2 


/* Begin Each Unroll: Check VGPR.checkin for INT8 LW */


	;; [unrolled: 1-line block ×3, first 2 shown]
/* iter 0 */

/*  grEndMfmaIndex:4, lwStartMfmaIndex:17, lwEndMfmaIndex:26  */
/*  numMfmaForLR:3, barrierMfmaIndex:28, LocalWritePerMfma:2.580 */
/*  mfmaIndex:0  */
s_waitcnt lgkmcnt(0)                               // lgkmcnt=0 vmcnt=-1wait for prior local read local write old=0, new=0 newLW=0 newLR=0
v_mfma_f32_16x16x4_f32 a[0+0:3+0], v[vgprValuB_X0_I0+0+0+0], v[vgprValuA_X0_I0+0+0+0], a[0:3]
/*  mfmaIndex:1  */
_ds_load_b32 v[vgprValuA_X1_I0+0], v[vgprLocalReadAddrA] offset:3072 // L -> Reg lro=768 swapByteOffset=0 ti=16 vIdx=0 rIdx=0 oIdx=0 buffer=1 iui=0
_ds_load_b32 v[vgprValuB_X1_I0+0], v[vgprLocalReadAddrB] offset:2048 // L -> Reg lro=512 swapByteOffset=0 ti=32 vIdx=0 rIdx=0 oIdx=0 buffer=1 iui=0

/* global read inc A loopL */
s_add_u32 s[sgprSrdA+0], s[sgprSrdA+0], s[sgprGlobalReadIncsA+0] // gra SRD += inc(lower)
s_addc_u32  s[sgprSrdA+1], s[sgprSrdA+1], 0        // gra SRD += inc(upper)
s_sub_u32 s[sgprShadowLimitA+0], s[sgprShadowLimitA+0], s[sgprGlobalReadIncsA+0] // limit -= inc)
v_mfma_f32_16x16x4_f32 a[4+0:7+0], v[vgprValuB_X0_I0+0+0+0], v[vgprValuA_X0_I0+1+0+0], a[4:7]
/*  mfmaIndex:2  */
_ds_load_b32 v[vgprValuA_X1_I0+1], v[vgprLocalReadAddrA] offset:3136 // L -> Reg lro=768 swapByteOffset=0 ti=16 vIdx=1 rIdx=0 oIdx=0 buffer=1 iui=0
_ds_load_b32 v[vgprValuB_X1_I0+1], v[vgprLocalReadAddrB] offset:2052 // L -> Reg lro=512 swapByteOffset=0 ti=32 vIdx=0 rIdx=0 oIdx=0 buffer=1 iui=0
/* localReadsVacancy: latencyLeft 1 */
s_subb_u32 s[sgprShadowLimitA+1], s[sgprShadowLimitA+1], 0 // limit -= inc)
s_cmp_eq_u32 s[sgprShadowLimitA+1], 0              // are we within 2^32?
s_cmov_b32 s[sgprSrdA+2], s[sgprShadowLimitA+0]    // Move shadow to real if we are within 2^32
v_mfma_f32_16x16x4_f32 a[12+0:15+0], v[vgprValuB_X0_I0+1+0+0], v[vgprValuA_X0_I0+1+0+0], a[12:15]
/*  mfmaIndex:3  */
/* localReadsVacancy: latencyLeft 5 */
_ds_load_b32 v[vgprValuA_X2_I0+0], v[vgprLocalReadAddrA] offset:6144 // L -> Reg lro=1536 swapByteOffset=0 ti=16 vIdx=0 rIdx=0 oIdx=0 buffer=2 iui=0
_ds_load_b32 v[vgprValuB_X2_I0+0], v[vgprLocalReadAddrB] offset:4096 // L -> Reg lro=1024 swapByteOffset=0 ti=32 vIdx=0 rIdx=0 oIdx=0 buffer=2 iui=0

/* global read inc B loopL */
s_add_u32 s[sgprSrdB+0], s[sgprSrdB+0], s[sgprGlobalReadIncsB+0] // gra SRD += inc(lower)
s_addc_u32  s[sgprSrdB+1], s[sgprSrdB+1], 0        // gra SRD += inc(upper)
s_sub_u32 s[sgprShadowLimitB+0], s[sgprShadowLimitB+0], s[sgprGlobalReadIncsB+0] // limit -= inc)
v_mfma_f32_16x16x4_f32 a[8+0:11+0], v[vgprValuB_X0_I0+1+0+0], v[vgprValuA_X0_I0+0+0+0], a[8:11]
/* numPrefetchIter=0 */
/* dataAtIterA=-1 numReadsIterA=1 skipReadsIterA=1 readsPerIterA=2 */
/* dataAtIterB=-1 numReadsIterB=1 skipReadsIterB=1 readsPerIterB=2 */


/* iter 1 */

/*  grEndMfmaIndex:4, lwStartMfmaIndex:17, lwEndMfmaIndex:26  */
/*  numMfmaForLR:3, barrierMfmaIndex:28, LocalWritePerMfma:2.580 */
/*  mfmaIndex:4  */
_ds_load_b32 v[vgprValuA_X2_I0+1], v[vgprLocalReadAddrA] offset:6208 // L -> Reg lro=1536 swapByteOffset=0 ti=16 vIdx=1 rIdx=0 oIdx=0 buffer=2 iui=0
_ds_load_b32 v[vgprValuB_X2_I0+1], v[vgprLocalReadAddrB] offset:4100 // L -> Reg lro=1024 swapByteOffset=0 ti=32 vIdx=0 rIdx=0 oIdx=0 buffer=2 iui=0
/* localReadsVacancy: latencyLeft 1 */
s_subb_u32 s[sgprShadowLimitB+1], s[sgprShadowLimitB+1], 0 // limit -= inc)
s_cmp_eq_u32 s[sgprShadowLimitB+1], 0              // are we within 2^32?
s_cmov_b32 s[sgprSrdB+2], s[sgprShadowLimitB+0]    // Move shadow to real if we are within 2^32
s_waitcnt lgkmcnt(4)                               // lgkmcnt=0 vmcnt=-1wait for prior local read local write old=2, new=4 newLW=0 newLR=2
v_mfma_f32_16x16x4_f32 a[0+0:3+0], v[vgprValuB_X1_I0+0+0+0], v[vgprValuA_X1_I0+0+0+0], a[0:3]
/*  mfmaIndex:5  */
/* localReadsVacancy: latencyLeft 5 */
_ds_load_b32 v[vgprValuA_X3_I0+0], v[vgprLocalReadAddrA] offset:9216 // L -> Reg lro=2304 swapByteOffset=0 ti=16 vIdx=0 rIdx=0 oIdx=0 buffer=3 iui=0
_ds_load_b32 v[vgprValuB_X3_I0+0], v[vgprLocalReadAddrB] offset:6144 // L -> Reg lro=1536 swapByteOffset=0 ti=32 vIdx=0 rIdx=0 oIdx=0 buffer=3 iui=0
v_mfma_f32_16x16x4_f32 a[4+0:7+0], v[vgprValuB_X1_I0+0+0+0], v[vgprValuA_X1_I0+1+0+0], a[4:7]
/*  mfmaIndex:6  */
/* localReadsVacancy: latencyLeft 5 */
_ds_load_b32 v[vgprValuA_X3_I0+1], v[vgprLocalReadAddrA] offset:9280 // L -> Reg lro=2304 swapByteOffset=0 ti=16 vIdx=1 rIdx=0 oIdx=0 buffer=3 iui=0
_ds_load_b32 v[vgprValuB_X3_I0+1], v[vgprLocalReadAddrB] offset:6148 // L -> Reg lro=1536 swapByteOffset=0 ti=32 vIdx=0 rIdx=0 oIdx=0 buffer=3 iui=0
v_mfma_f32_16x16x4_f32 a[12+0:15+0], v[vgprValuB_X1_I0+1+0+0], v[vgprValuA_X1_I0+1+0+0], a[12:15]
/*  mfmaIndex:7  */
/* localReadsVacancy: latencyLeft 5 */
_ds_load_b32 v[vgprValuA_X4_I0+0], v[vgprLocalReadAddrA] offset:12288 // L -> Reg lro=3072 swapByteOffset=0 ti=16 vIdx=0 rIdx=0 oIdx=0 buffer=4 iui=0
_ds_load_b32 v[vgprValuB_X4_I0+0], v[vgprLocalReadAddrB] offset:8192 // L -> Reg lro=2048 swapByteOffset=0 ti=32 vIdx=0 rIdx=0 oIdx=0 buffer=4 iui=0
v_mfma_f32_16x16x4_f32 a[8+0:11+0], v[vgprValuB_X1_I0+1+0+0], v[vgprValuA_X1_I0+0+0+0], a[8:11]
/* numPrefetchIter=0 */
/* dataAtIterA=0 numReadsIterA=2 skipReadsIterA=1 readsPerIterA=2 */
/* dataAtIterB=0 numReadsIterB=2 skipReadsIterB=1 readsPerIterB=2 */


/* iter 2 */

/*  grEndMfmaIndex:4, lwStartMfmaIndex:17, lwEndMfmaIndex:26  */
/*  numMfmaForLR:3, barrierMfmaIndex:28, LocalWritePerMfma:2.580 */
/*  mfmaIndex:8  */
/* localReadsVacancy: latencyLeft 5 */
_ds_load_b32 v[vgprValuA_X4_I0+1], v[vgprLocalReadAddrA] offset:12352 // L -> Reg lro=3072 swapByteOffset=0 ti=16 vIdx=1 rIdx=0 oIdx=0 buffer=4 iui=0
_ds_load_b32 v[vgprValuB_X4_I0+1], v[vgprLocalReadAddrB] offset:8196 // L -> Reg lro=2048 swapByteOffset=0 ti=32 vIdx=0 rIdx=0 oIdx=0 buffer=4 iui=0
s_waitcnt lgkmcnt(8)                               // lgkmcnt=0 vmcnt=-1wait for prior local read local write old=4, new=4 newLW=0 newLR=0
v_mfma_f32_16x16x4_f32 a[0+0:3+0], v[vgprValuB_X2_I0+0+0+0], v[vgprValuA_X2_I0+0+0+0], a[0:3]
/*  mfmaIndex:9  */
/* localReadsVacancy: latencyLeft 5 */
_ds_load_b32 v[vgprValuA_X5_I0+0], v[vgprLocalReadAddrA] offset:15360 // L -> Reg lro=3840 swapByteOffset=0 ti=16 vIdx=0 rIdx=0 oIdx=0 buffer=5 iui=0
_ds_load_b32 v[vgprValuB_X5_I0+0], v[vgprLocalReadAddrB] offset:10240 // L -> Reg lro=2560 swapByteOffset=0 ti=32 vIdx=0 rIdx=0 oIdx=0 buffer=5 iui=0
v_mfma_f32_16x16x4_f32 a[4+0:7+0], v[vgprValuB_X2_I0+0+0+0], v[vgprValuA_X2_I0+1+0+0], a[4:7]
/*  mfmaIndex:10  */
/* localReadsVacancy: latencyLeft 5 */
_ds_load_b32 v[vgprValuA_X5_I0+1], v[vgprLocalReadAddrA] offset:15424 // L -> Reg lro=3840 swapByteOffset=0 ti=16 vIdx=1 rIdx=0 oIdx=0 buffer=5 iui=0
_ds_load_b32 v[vgprValuB_X5_I0+1], v[vgprLocalReadAddrB] offset:10244 // L -> Reg lro=2560 swapByteOffset=0 ti=32 vIdx=0 rIdx=0 oIdx=0 buffer=5 iui=0
v_mfma_f32_16x16x4_f32 a[12+0:15+0], v[vgprValuB_X2_I0+1+0+0], v[vgprValuA_X2_I0+1+0+0], a[12:15]
/*  mfmaIndex:11  */
/* localReadsVacancy: latencyLeft 5 */
_ds_load_b32 v[vgprValuA_X6_I0+0], v[vgprLocalReadAddrA] offset:18432 // L -> Reg lro=4608 swapByteOffset=0 ti=16 vIdx=0 rIdx=0 oIdx=0 buffer=6 iui=0
_ds_load_b32 v[vgprValuB_X6_I0+0], v[vgprLocalReadAddrB] offset:12288 // L -> Reg lro=3072 swapByteOffset=0 ti=32 vIdx=0 rIdx=0 oIdx=0 buffer=6 iui=0
v_mfma_f32_16x16x4_f32 a[8+0:11+0], v[vgprValuB_X2_I0+1+0+0], v[vgprValuA_X2_I0+0+0+0], a[8:11]
/* numPrefetchIter=0 */
/* dataAtIterA=1 numReadsIterA=3 skipReadsIterA=1 readsPerIterA=2 */
/* dataAtIterB=1 numReadsIterB=3 skipReadsIterB=1 readsPerIterB=2 */


/* iter 3 */

/*  grEndMfmaIndex:4, lwStartMfmaIndex:17, lwEndMfmaIndex:26  */
/*  numMfmaForLR:3, barrierMfmaIndex:28, LocalWritePerMfma:2.580 */
/*  mfmaIndex:12  */
/* localReadsVacancy: latencyLeft 5 */
_ds_load_b32 v[vgprValuA_X6_I0+1], v[vgprLocalReadAddrA] offset:18496 // L -> Reg lro=4608 swapByteOffset=0 ti=16 vIdx=1 rIdx=0 oIdx=0 buffer=6 iui=0
_ds_load_b32 v[vgprValuB_X6_I0+1], v[vgprLocalReadAddrB] offset:12292 // L -> Reg lro=3072 swapByteOffset=0 ti=32 vIdx=0 rIdx=0 oIdx=0 buffer=6 iui=0
s_waitcnt lgkmcnt(10)                              // lgkmcnt=0 vmcnt=-1wait for prior local read local write old=2, new=2 newLW=0 newLR=0
v_mfma_f32_16x16x4_f32 a[0+0:3+0], v[vgprValuB_X3_I0+0+0+0], v[vgprValuA_X3_I0+0+0+0], a[0:3]
/*  mfmaIndex:13  */
/* localReadsVacancy: latencyLeft 5 */
_ds_load_b32 v[vgprValuA_X7_I0+0], v[vgprLocalReadAddrA] offset:21504 // L -> Reg lro=5376 swapByteOffset=0 ti=16 vIdx=0 rIdx=0 oIdx=0 buffer=7 iui=0
_ds_load_b32 v[vgprValuB_X7_I0+0], v[vgprLocalReadAddrB] offset:14336 // L -> Reg lro=3584 swapByteOffset=0 ti=32 vIdx=0 rIdx=0 oIdx=0 buffer=7 iui=0
v_mfma_f32_16x16x4_f32 a[4+0:7+0], v[vgprValuB_X3_I0+0+0+0], v[vgprValuA_X3_I0+1+0+0], a[4:7]
/*  mfmaIndex:14  */
/* localReadsVacancy: latencyLeft 5 */
_ds_load_b32 v[vgprValuA_X7_I0+1], v[vgprLocalReadAddrA] offset:21568 // L -> Reg lro=5376 swapByteOffset=0 ti=16 vIdx=1 rIdx=0 oIdx=0 buffer=7 iui=0
_ds_load_b32 v[vgprValuB_X7_I0+1], v[vgprLocalReadAddrB] offset:14340 // L -> Reg lro=3584 swapByteOffset=0 ti=32 vIdx=0 rIdx=0 oIdx=0 buffer=7 iui=0
v_mfma_f32_16x16x4_f32 a[12+0:15+0], v[vgprValuB_X3_I0+1+0+0], v[vgprValuA_X3_I0+1+0+0], a[12:15]
/*  mfmaIndex:15  */
/* localReadsVacancy: latencyLeft 5 */
v_mfma_f32_16x16x4_f32 a[8+0:11+0], v[vgprValuB_X3_I0+1+0+0], v[vgprValuA_X3_I0+0+0+0], a[8:11]
/* numPrefetchIter=0 */
/* dataAtIterA=2 numReadsIterA=4 skipReadsIterA=1 readsPerIterA=2 */
/* dataAtIterB=2 numReadsIterB=4 skipReadsIterB=1 readsPerIterB=2 */


/* iter 4 */

/*  grEndMfmaIndex:4, lwStartMfmaIndex:17, lwEndMfmaIndex:26  */
/*  numMfmaForLR:3, barrierMfmaIndex:28, LocalWritePerMfma:2.580 */
/*  mfmaIndex:16  */
/* localReadsVacancy: latencyLeft 5 */
/* 1 LDS buffer: read-sync-write */
s_waitcnt lgkmcnt(0)                               // 
s_barrier                                          // 
s_waitcnt lgkmcnt(12)                              // lgkmcnt=0 vmcnt=-1wait for prior local read local write old=4, new=4 newLW=0 newLR=0
v_mfma_f32_16x16x4_f32 a[0+0:3+0], v[vgprValuB_X4_I0+0+0+0], v[vgprValuA_X4_I0+0+0+0], a[0:3]
/*  mfmaIndex:17  */
s_setprio 3                                        // store optimization
/* sched write - iter 4 writesPerItem=1 */
s_waitcnt vmcnt(0)                                 // lgkmcnt=-1 vmcnt=0wait for global read before writing to local
_ds_store_b32 v[vgprLocalWriteAddrA], v[vgprG2LA+0] offset:0 // lwoA_0_0_0_0 = (0*LSCA) + (0*LSPA)(*MT0I+PAD) = 0
_buffer_load_b32 v[vgprG2LA+0], v[vgprGlobalReadOffsetA+0], s[sgprSrdA:sgprSrdA+3], 0, offen offset:0 // G -> Reg 0_0_0_0
/* sched write - iter 4 writesPerItem=1 */
s_waitcnt vmcnt(0)                                 // lgkmcnt=-1 vmcnt=0wait for global read before writing to local
_ds_store_b32 v[vgprLocalWriteAddrA], v[vgprG2LA+1] offset:1536 // lwoA_0_0_1_0 = (0*LSCA) + (1*LSPA)(*MT0I+PAD) = 1536
_buffer_load_b32 v[vgprG2LA+1], v[vgprGlobalReadOffsetA+1], s[sgprSrdA:sgprSrdA+3], 0, offen offset:0 // G -> Reg 0_0_1_0
/* sched write - iter 4 writesPerItem=1 */
s_waitcnt vmcnt(0)                                 // lgkmcnt=-1 vmcnt=0wait for global read before writing to local
_ds_store_b32 v[vgprLocalWriteAddrA], v[vgprG2LA+2] offset:3072 // lwoA_0_0_2_0 = (0*LSCA) + (2*LSPA)(*MT0I+PAD) = 3072
v_mfma_f32_16x16x4_f32 a[4+0:7+0], v[vgprValuB_X4_I0+0+0+0], v[vgprValuA_X4_I0+1+0+0], a[4:7]
/*  mfmaIndex:18  */
_buffer_load_b32 v[vgprG2LA+2], v[vgprGlobalReadOffsetA+2], s[sgprSrdA:sgprSrdA+3], 0, offen offset:0 // G -> Reg 0_0_2_0
/* sched write - iter 4 writesPerItem=1 */
s_waitcnt vmcnt(0)                                 // lgkmcnt=-1 vmcnt=0wait for global read before writing to local
_ds_store_b32 v[vgprLocalWriteAddrA], v[vgprG2LA+3] offset:4608 // lwoA_0_0_3_0 = (0*LSCA) + (3*LSPA)(*MT0I+PAD) = 4608
_buffer_load_b32 v[vgprG2LA+3], v[vgprGlobalReadOffsetA+3], s[sgprSrdA:sgprSrdA+3], 0, offen offset:0 // G -> Reg 0_0_3_0
/* sched write - iter 4 writesPerItem=1 */
s_waitcnt vmcnt(0)                                 // lgkmcnt=-1 vmcnt=0wait for global read before writing to local
_ds_store_b32 v[vgprLocalWriteAddrA], v[vgprG2LA+4] offset:6144 // lwoA_0_0_4_0 = (0*LSCA) + (4*LSPA)(*MT0I+PAD) = 6144
_buffer_load_b32 v[vgprG2LA+4], v[vgprGlobalReadOffsetA+4], s[sgprSrdA:sgprSrdA+3], 0, offen offset:0 // G -> Reg 0_0_4_0
/* sched write - iter 4 writesPerItem=1 */
s_waitcnt vmcnt(0)                                 // lgkmcnt=-1 vmcnt=0wait for global read before writing to local
_ds_store_b32 v[vgprLocalWriteAddrA], v[vgprG2LA+5] offset:7680 // lwoA_0_0_5_0 = (0*LSCA) + (5*LSPA)(*MT0I+PAD) = 7680
v_mfma_f32_16x16x4_f32 a[12+0:15+0], v[vgprValuB_X4_I0+1+0+0], v[vgprValuA_X4_I0+1+0+0], a[12:15]
/*  mfmaIndex:19  */
_buffer_load_b32 v[vgprG2LA+5], v[vgprGlobalReadOffsetA+5], s[sgprSrdA:sgprSrdA+3], 0, offen offset:0 // G -> Reg 0_0_5_0
/* sched write - iter 4 writesPerItem=1 */
s_waitcnt vmcnt(0)                                 // lgkmcnt=-1 vmcnt=0wait for global read before writing to local
_ds_store_b32 v[vgprLocalWriteAddrA], v[vgprG2LA+6] offset:9216 // lwoA_0_0_6_0 = (0*LSCA) + (6*LSPA)(*MT0I+PAD) = 9216
_buffer_load_b32 v[vgprG2LA+6], v[vgprGlobalReadOffsetA+6], s[sgprSrdA:sgprSrdA+3], 0, offen offset:0 // G -> Reg 0_0_6_0
/* sched write - iter 4 writesPerItem=1 */
s_waitcnt vmcnt(0)                                 // lgkmcnt=-1 vmcnt=0wait for global read before writing to local
_ds_store_b32 v[vgprLocalWriteAddrA], v[vgprG2LA+7] offset:10752 // lwoA_0_0_7_0 = (0*LSCA) + (7*LSPA)(*MT0I+PAD) = 10752
_buffer_load_b32 v[vgprG2LA+7], v[vgprGlobalReadOffsetA+7], s[sgprSrdA:sgprSrdA+3], 0, offen offset:0 // G -> Reg 0_0_7_0
v_mfma_f32_16x16x4_f32 a[8+0:11+0], v[vgprValuB_X4_I0+1+0+0], v[vgprValuA_X4_I0+0+0+0], a[8:11]
/* numPrefetchIter=0 */
/* dataAtIterA=3 numReadsIterA=5 skipReadsIterA=1 readsPerIterA=2 */
/* dataAtIterB=3 numReadsIterB=5 skipReadsIterB=1 readsPerIterB=2 */


/* iter 5 */

/*  grEndMfmaIndex:4, lwStartMfmaIndex:17, lwEndMfmaIndex:26  */
/*  numMfmaForLR:3, barrierMfmaIndex:28, LocalWritePerMfma:2.580 */
/*  mfmaIndex:20  */
/* sched write - iter 5 writesPerItem=1 */
s_waitcnt vmcnt(0)                                 // lgkmcnt=-1 vmcnt=0wait for global read before writing to local
_ds_store_b32 v[vgprLocalWriteAddrA], v[vgprG2LA+8] offset:12288 // lwoA_0_0_8_0 = (0*LSCA) + (8*LSPA)(*MT0I+PAD) = 12288
_buffer_load_b32 v[vgprG2LA+8], v[vgprGlobalReadOffsetA+8], s[sgprSrdA:sgprSrdA+3], 0, offen offset:0 // G -> Reg 0_0_8_0
/* sched write - iter 5 writesPerItem=1 */
s_waitcnt vmcnt(0)                                 // lgkmcnt=-1 vmcnt=0wait for global read before writing to local
_ds_store_b32 v[vgprLocalWriteAddrA], v[vgprG2LA+9] offset:13824 // lwoA_0_0_9_0 = (0*LSCA) + (9*LSPA)(*MT0I+PAD) = 13824
_buffer_load_b32 v[vgprG2LA+9], v[vgprGlobalReadOffsetA+9], s[sgprSrdA:sgprSrdA+3], 0, offen offset:0 // G -> Reg 0_0_9_0
/* sched write - iter 5 writesPerItem=1 */
s_waitcnt vmcnt(0)                                 // lgkmcnt=-1 vmcnt=0wait for global read before writing to local
_ds_store_b32 v[vgprLocalWriteAddrA], v[vgprG2LA+10] offset:15360 // lwoA_0_0_10_0 = (0*LSCA) + (10*LSPA)(*MT0I+PAD) = 15360
v_mfma_f32_16x16x4_f32 a[0+0:3+0], v[vgprValuB_X5_I0+0+0+0], v[vgprValuA_X5_I0+0+0+0], a[0:3]
/*  mfmaIndex:21  */
_buffer_load_b32 v[vgprG2LA+10], v[vgprGlobalReadOffsetA+10], s[sgprSrdA:sgprSrdA+3], 0, offen offset:0 // G -> Reg 0_0_10_0
/* sched write - iter 5 writesPerItem=1 */
s_waitcnt vmcnt(0)                                 // lgkmcnt=-1 vmcnt=0wait for global read before writing to local
_ds_store_b32 v[vgprLocalWriteAddrA], v[vgprG2LA+11] offset:16896 // lwoA_0_0_11_0 = (0*LSCA) + (11*LSPA)(*MT0I+PAD) = 16896
_buffer_load_b32 v[vgprG2LA+11], v[vgprGlobalReadOffsetA+11], s[sgprSrdA:sgprSrdA+3], 0, offen offset:0 // G -> Reg 0_0_11_0
/* sched write - iter 5 writesPerItem=1 */
s_waitcnt vmcnt(0)                                 // lgkmcnt=-1 vmcnt=0wait for global read before writing to local
_ds_store_b32 v[vgprLocalWriteAddrA], v[vgprG2LA+12] offset:18432 // lwoA_0_0_12_0 = (0*LSCA) + (12*LSPA)(*MT0I+PAD) = 18432
_buffer_load_b32 v[vgprG2LA+12], v[vgprGlobalReadOffsetA+12], s[sgprSrdA:sgprSrdA+3], 0, offen offset:0 // G -> Reg 0_0_12_0
v_mfma_f32_16x16x4_f32 a[4+0:7+0], v[vgprValuB_X5_I0+0+0+0], v[vgprValuA_X5_I0+1+0+0], a[4:7]
/*  mfmaIndex:22  */
/* sched write - iter 5 writesPerItem=1 */
s_waitcnt vmcnt(0)                                 // lgkmcnt=-1 vmcnt=0wait for global read before writing to local
_ds_store_b32 v[vgprLocalWriteAddrA], v[vgprG2LA+13] offset:19968 // lwoA_0_0_13_0 = (0*LSCA) + (13*LSPA)(*MT0I+PAD) = 19968
_buffer_load_b32 v[vgprG2LA+13], v[vgprGlobalReadOffsetA+13], s[sgprSrdA:sgprSrdA+3], 0, offen offset:0 // G -> Reg 0_0_13_0
/* sched write - iter 5 writesPerItem=1 */
s_waitcnt vmcnt(0)                                 // lgkmcnt=-1 vmcnt=0wait for global read before writing to local
_ds_store_b32 v[vgprLocalWriteAddrA], v[vgprG2LA+14] offset:21504 // lwoA_0_0_14_0 = (0*LSCA) + (14*LSPA)(*MT0I+PAD) = 21504
_buffer_load_b32 v[vgprG2LA+14], v[vgprGlobalReadOffsetA+14], s[sgprSrdA:sgprSrdA+3], 0, offen offset:0 // G -> Reg 0_0_14_0
/* sched write - iter 5 writesPerItem=1 */
s_waitcnt vmcnt(0)                                 // lgkmcnt=-1 vmcnt=0wait for global read before writing to local
_ds_store_b32 v[vgprLocalWriteAddrA], v[vgprG2LA+15] offset:23040 // lwoA_0_0_15_0 = (0*LSCA) + (15*LSPA)(*MT0I+PAD) = 23040
v_mfma_f32_16x16x4_f32 a[12+0:15+0], v[vgprValuB_X5_I0+1+0+0], v[vgprValuA_X5_I0+1+0+0], a[12:15]
/*  mfmaIndex:23  */
_buffer_load_b32 v[vgprG2LA+15], v[vgprGlobalReadOffsetA+15], s[sgprSrdA:sgprSrdA+3], 0, offen offset:0 // G -> Reg 0_0_15_0
/* sched write - iter 5 writesPerItem=1 */
s_waitcnt vmcnt(0)                                 // lgkmcnt=-1 vmcnt=0wait for global read before writing to local
_ds_store_b64 v[vgprLocalWriteAddrB], v[vgprG2LB+0:vgprG2LB+0+1] offset:0 // lwoB_0_0_0_0 = (0*LSCB) + (0*LSPB)(*MT1J+PAD) = 0
_buffer_load_b64 v[vgprG2LB+0:vgprG2LB+0+1], v[vgprGlobalReadOffsetB+0], s[sgprSrdB:sgprSrdB+3], 0, offen offset:0 // G -> Reg 0_0_0_0
/* sched write - iter 5 writesPerItem=1 */
s_waitcnt vmcnt(0)                                 // lgkmcnt=-1 vmcnt=0wait for global read before writing to local
_ds_store_b64 v[vgprLocalWriteAddrB], v[vgprG2LB+2:vgprG2LB+2+1] offset:2048 // lwoB_0_0_1_0 = (0*LSCB) + (1*LSPB)(*MT1J+PAD) = 2048
_buffer_load_b64 v[vgprG2LB+2:vgprG2LB+2+1], v[vgprGlobalReadOffsetB+1], s[sgprSrdB:sgprSrdB+3], 0, offen offset:0 // G -> Reg 0_0_1_0
/* sched write - iter 5 writesPerItem=1 */
s_waitcnt vmcnt(0)                                 // lgkmcnt=-1 vmcnt=0wait for global read before writing to local
_ds_store_b64 v[vgprLocalWriteAddrB], v[vgprG2LB+4:vgprG2LB+4+1] offset:4096 // lwoB_0_0_2_0 = (0*LSCB) + (2*LSPB)(*MT1J+PAD) = 4096
v_mfma_f32_16x16x4_f32 a[8+0:11+0], v[vgprValuB_X5_I0+1+0+0], v[vgprValuA_X5_I0+0+0+0], a[8:11]


/* iter 6 (reset local read pointers iteration)  (swap and reset local write pointers iteration)  (swap local read pointers iteration)  */

/*  grEndMfmaIndex:4, lwStartMfmaIndex:17, lwEndMfmaIndex:26  */
/*  numMfmaForLR:3, barrierMfmaIndex:28, LocalWritePerMfma:2.580 */
/*  mfmaIndex:24  */
_buffer_load_b64 v[vgprG2LB+4:vgprG2LB+4+1], v[vgprGlobalReadOffsetB+2], s[sgprSrdB:sgprSrdB+3], 0, offen offset:0 // G -> Reg 0_0_2_0
/* sched write - iter 6 writesPerItem=1 */
s_waitcnt vmcnt(0)                                 // lgkmcnt=-1 vmcnt=0wait for global read before writing to local
_ds_store_b64 v[vgprLocalWriteAddrB], v[vgprG2LB+6:vgprG2LB+6+1] offset:6144 // lwoB_0_0_3_0 = (0*LSCB) + (3*LSPB)(*MT1J+PAD) = 6144
_buffer_load_b64 v[vgprG2LB+6:vgprG2LB+6+1], v[vgprGlobalReadOffsetB+3], s[sgprSrdB:sgprSrdB+3], 0, offen offset:0 // G -> Reg 0_0_3_0
/* sched write - iter 6 writesPerItem=1 */
s_waitcnt vmcnt(0)                                 // lgkmcnt=-1 vmcnt=0wait for global read before writing to local
_ds_store_b64 v[vgprLocalWriteAddrB], v[vgprG2LB+8:vgprG2LB+8+1] offset:8192 // lwoB_0_0_4_0 = (0*LSCB) + (4*LSPB)(*MT1J+PAD) = 8192
_buffer_load_b64 v[vgprG2LB+8:vgprG2LB+8+1], v[vgprGlobalReadOffsetB+4], s[sgprSrdB:sgprSrdB+3], 0, offen offset:0 // G -> Reg 0_0_4_0
v_mfma_f32_16x16x4_f32 a[0+0:3+0], v[vgprValuB_X6_I0+0+0+0], v[vgprValuA_X6_I0+0+0+0], a[0:3]
/*  mfmaIndex:25  */
/* sched write - iter 6 writesPerItem=1 */
s_waitcnt vmcnt(0)                                 // lgkmcnt=-1 vmcnt=0wait for global read before writing to local
_ds_store_b64 v[vgprLocalWriteAddrB], v[vgprG2LB+10:vgprG2LB+10+1] offset:10240 // lwoB_0_0_5_0 = (0*LSCB) + (5*LSPB)(*MT1J+PAD) = 10240
_buffer_load_b64 v[vgprG2LB+10:vgprG2LB+10+1], v[vgprGlobalReadOffsetB+5], s[sgprSrdB:sgprSrdB+3], 0, offen offset:0 // G -> Reg 0_0_5_0
/* sched write - iter 6 writesPerItem=1 */
s_waitcnt vmcnt(0)                                 // lgkmcnt=-1 vmcnt=0wait for global read before writing to local
_ds_store_b64 v[vgprLocalWriteAddrB], v[vgprG2LB+12:vgprG2LB+12+1] offset:12288 // lwoB_0_0_6_0 = (0*LSCB) + (6*LSPB)(*MT1J+PAD) = 12288
_buffer_load_b64 v[vgprG2LB+12:vgprG2LB+12+1], v[vgprGlobalReadOffsetB+6], s[sgprSrdB:sgprSrdB+3], 0, offen offset:0 // G -> Reg 0_0_6_0
/* sched write - iter 6 writesPerItem=1 */
s_waitcnt vmcnt(0)                                 // lgkmcnt=-1 vmcnt=0wait for global read before writing to local
_ds_store_b64 v[vgprLocalWriteAddrB], v[vgprG2LB+14:vgprG2LB+14+1] offset:14336 // lwoB_0_0_7_0 = (0*LSCB) + (7*LSPB)(*MT1J+PAD) = 14336
v_mfma_f32_16x16x4_f32 a[4+0:7+0], v[vgprValuB_X6_I0+0+0+0], v[vgprValuA_X6_I0+1+0+0], a[4:7]
/*  mfmaIndex:26  */
_buffer_load_b64 v[vgprG2LB+14:vgprG2LB+14+1], v[vgprGlobalReadOffsetB+7], s[sgprSrdB:sgprSrdB+3], 0, offen offset:0 // G -> Reg 0_0_7_0

/* local write swap offsets a */

/* local write swap offsets b */
v_mfma_f32_16x16x4_f32 a[12+0:15+0], v[vgprValuB_X6_I0+1+0+0], v[vgprValuA_X6_I0+1+0+0], a[12:15]
/*  mfmaIndex:27  */

/* local read swap offsets a */

/* local read swap offsets b */

/* local read init pointers a */

/* localReadInitPointers */

/* local read init pointers b */

/* localReadInitPointers */
v_mfma_f32_16x16x4_f32 a[8+0:11+0], v[vgprValuB_X6_I0+1+0+0], v[vgprValuA_X6_I0+0+0+0], a[8:11]
s_setprio 0                                        // store optimization


/* iter 7 */

/*  grEndMfmaIndex:4, lwStartMfmaIndex:17, lwEndMfmaIndex:26  */
/*  numMfmaForLR:3, barrierMfmaIndex:28, LocalWritePerMfma:2.580 */
/*  mfmaIndex:28  */
s_waitcnt lgkmcnt(0)                               // lgkmcnt=0 vmcnt=-13wait for local write
// Skip force waitcnt0
s_barrier //
v_mfma_f32_16x16x4_f32 a[0+0:3+0], v[vgprValuB_X7_I0+0+0+0], v[vgprValuA_X7_I0+0+0+0], a[0:3]
/*  mfmaIndex:29  */
s_setprio 3                                        // store optimization
_ds_load_b32 v[vgprValuA_X0_I0+0], v[vgprLocalReadAddrA] offset:0 // L -> Reg lro=0 swapByteOffset=0 ti=16 vIdx=0 rIdx=0 oIdx=0 buffer=0 iui=0
_ds_load_b32 v[vgprValuB_X0_I0+0], v[vgprLocalReadAddrB] offset:0 // L -> Reg lro=0 swapByteOffset=0 ti=32 vIdx=0 rIdx=0 oIdx=0 buffer=0 iui=0
v_mfma_f32_16x16x4_f32 a[4+0:7+0], v[vgprValuB_X7_I0+0+0+0], v[vgprValuA_X7_I0+1+0+0], a[4:7]
/*  mfmaIndex:30  */
_ds_load_b32 v[vgprValuA_X0_I0+1], v[vgprLocalReadAddrA] offset:64 // L -> Reg lro=0 swapByteOffset=0 ti=16 vIdx=1 rIdx=0 oIdx=0 buffer=0 iui=0
_ds_load_b32 v[vgprValuB_X0_I0+1], v[vgprLocalReadAddrB] offset:4 // L -> Reg lro=0 swapByteOffset=0 ti=32 vIdx=0 rIdx=0 oIdx=0 buffer=0 iui=0
v_mfma_f32_16x16x4_f32 a[12+0:15+0], v[vgprValuB_X7_I0+1+0+0], v[vgprValuA_X7_I0+1+0+0], a[12:15]
/*  mfmaIndex:31  */
v_mfma_f32_16x16x4_f32 a[8+0:11+0], v[vgprValuB_X7_I0+1+0+0], v[vgprValuA_X7_I0+0+0+0], a[8:11]
s_setprio 0                                        // store optimization


/******************************************/
/* Unrolled Loop - End 2/2 (final)        */
/******************************************/


/* closeLoop loopL finalLoop=1 tailLoop=0 */
s_sub_u32 s[sgprLoopCounterL], s[sgprLoopCounterL], 1 // dec counterL
s_cmp_eq_i32 s[sgprLoopCounterL], 0x2              // counterL==2
s_cbranch_scc0 LoopBeginL_1                        // restart LoopL
LoopEndL_evenexit_4: // unroll loop eveniter exit
s_branch LoopEndL_2                                // exit unroll loopL (and skip second exit code)
LoopEndL_oddexit_3: // unroll loop odditer exit

/* Select high bank of LDS */
LoopEndL_2:


/* Before NLL: Check VGPR.checkin for INT8 LW */


/******************************************/
/* Ord. NoGlobalLoadLoop - Begin                                      */
/******************************************/


	;; [unrolled: 1-line block ×3, first 2 shown]
/* iter 0 */

/*  grEndMfmaIndex:4, lwStartMfmaIndex:17, lwEndMfmaIndex:26  */
/*  numMfmaForLR:3, barrierMfmaIndex:28, LocalWritePerMfma:2.580 */
/*  mfmaIndex:0  */
s_waitcnt lgkmcnt(0)                               // lgkmcnt=0 vmcnt=-1wait for prior local read local write old=0, new=0 newLW=0 newLR=0
v_mfma_f32_16x16x4_f32 a[0+0:3+0], v[vgprValuB_X0_I0+0+0+0], v[vgprValuA_X0_I0+0+0+0], a[0:3]
/*  mfmaIndex:1  */
_ds_load_b32 v[vgprValuA_X1_I0+0], v[vgprLocalReadAddrA] offset:3072 // L -> Reg lro=768 swapByteOffset=0 ti=16 vIdx=0 rIdx=0 oIdx=0 buffer=1 iui=0
_ds_load_b32 v[vgprValuB_X1_I0+0], v[vgprLocalReadAddrB] offset:2048 // L -> Reg lro=512 swapByteOffset=0 ti=32 vIdx=0 rIdx=0 oIdx=0 buffer=1 iui=0

/* global read inc A loopL */
s_add_u32 s[sgprSrdA+0], s[sgprSrdA+0], s[sgprGlobalReadIncsA+0] // gra SRD += inc(lower)
s_addc_u32  s[sgprSrdA+1], s[sgprSrdA+1], 0        // gra SRD += inc(upper)
s_sub_u32 s[sgprShadowLimitA+0], s[sgprShadowLimitA+0], s[sgprGlobalReadIncsA+0] // limit -= inc)
v_mfma_f32_16x16x4_f32 a[4+0:7+0], v[vgprValuB_X0_I0+0+0+0], v[vgprValuA_X0_I0+1+0+0], a[4:7]
/*  mfmaIndex:2  */
_ds_load_b32 v[vgprValuA_X1_I0+1], v[vgprLocalReadAddrA] offset:3136 // L -> Reg lro=768 swapByteOffset=0 ti=16 vIdx=1 rIdx=0 oIdx=0 buffer=1 iui=0
_ds_load_b32 v[vgprValuB_X1_I0+1], v[vgprLocalReadAddrB] offset:2052 // L -> Reg lro=512 swapByteOffset=0 ti=32 vIdx=0 rIdx=0 oIdx=0 buffer=1 iui=0
/* localReadsVacancy: latencyLeft 1 */
s_subb_u32 s[sgprShadowLimitA+1], s[sgprShadowLimitA+1], 0 // limit -= inc)
s_cmp_eq_u32 s[sgprShadowLimitA+1], 0              // are we within 2^32?
s_cmov_b32 s[sgprSrdA+2], s[sgprShadowLimitA+0]    // Move shadow to real if we are within 2^32
v_mfma_f32_16x16x4_f32 a[12+0:15+0], v[vgprValuB_X0_I0+1+0+0], v[vgprValuA_X0_I0+1+0+0], a[12:15]
/*  mfmaIndex:3  */
/* localReadsVacancy: latencyLeft 5 */
_ds_load_b32 v[vgprValuA_X2_I0+0], v[vgprLocalReadAddrA] offset:6144 // L -> Reg lro=1536 swapByteOffset=0 ti=16 vIdx=0 rIdx=0 oIdx=0 buffer=2 iui=0
_ds_load_b32 v[vgprValuB_X2_I0+0], v[vgprLocalReadAddrB] offset:4096 // L -> Reg lro=1024 swapByteOffset=0 ti=32 vIdx=0 rIdx=0 oIdx=0 buffer=2 iui=0

/* global read inc B loopL */
s_add_u32 s[sgprSrdB+0], s[sgprSrdB+0], s[sgprGlobalReadIncsB+0] // gra SRD += inc(lower)
s_addc_u32  s[sgprSrdB+1], s[sgprSrdB+1], 0        // gra SRD += inc(upper)
s_sub_u32 s[sgprShadowLimitB+0], s[sgprShadowLimitB+0], s[sgprGlobalReadIncsB+0] // limit -= inc)
v_mfma_f32_16x16x4_f32 a[8+0:11+0], v[vgprValuB_X0_I0+1+0+0], v[vgprValuA_X0_I0+0+0+0], a[8:11]
/* numPrefetchIter=0 */
/* dataAtIterA=-1 numReadsIterA=1 skipReadsIterA=1 readsPerIterA=2 */
/* dataAtIterB=-1 numReadsIterB=1 skipReadsIterB=1 readsPerIterB=2 */


/* iter 1 */

/*  grEndMfmaIndex:4, lwStartMfmaIndex:17, lwEndMfmaIndex:26  */
/*  numMfmaForLR:3, barrierMfmaIndex:28, LocalWritePerMfma:2.580 */
/*  mfmaIndex:4  */
_ds_load_b32 v[vgprValuA_X2_I0+1], v[vgprLocalReadAddrA] offset:6208 // L -> Reg lro=1536 swapByteOffset=0 ti=16 vIdx=1 rIdx=0 oIdx=0 buffer=2 iui=0
_ds_load_b32 v[vgprValuB_X2_I0+1], v[vgprLocalReadAddrB] offset:4100 // L -> Reg lro=1024 swapByteOffset=0 ti=32 vIdx=0 rIdx=0 oIdx=0 buffer=2 iui=0
/* localReadsVacancy: latencyLeft 1 */
s_subb_u32 s[sgprShadowLimitB+1], s[sgprShadowLimitB+1], 0 // limit -= inc)
s_cmp_eq_u32 s[sgprShadowLimitB+1], 0              // are we within 2^32?
s_cmov_b32 s[sgprSrdB+2], s[sgprShadowLimitB+0]    // Move shadow to real if we are within 2^32
s_waitcnt lgkmcnt(4)                               // lgkmcnt=0 vmcnt=-1wait for prior local read local write old=2, new=4 newLW=0 newLR=2
v_mfma_f32_16x16x4_f32 a[0+0:3+0], v[vgprValuB_X1_I0+0+0+0], v[vgprValuA_X1_I0+0+0+0], a[0:3]
/*  mfmaIndex:5  */
/* localReadsVacancy: latencyLeft 5 */
_ds_load_b32 v[vgprValuA_X3_I0+0], v[vgprLocalReadAddrA] offset:9216 // L -> Reg lro=2304 swapByteOffset=0 ti=16 vIdx=0 rIdx=0 oIdx=0 buffer=3 iui=0
_ds_load_b32 v[vgprValuB_X3_I0+0], v[vgprLocalReadAddrB] offset:6144 // L -> Reg lro=1536 swapByteOffset=0 ti=32 vIdx=0 rIdx=0 oIdx=0 buffer=3 iui=0
v_mfma_f32_16x16x4_f32 a[4+0:7+0], v[vgprValuB_X1_I0+0+0+0], v[vgprValuA_X1_I0+1+0+0], a[4:7]
/*  mfmaIndex:6  */
/* localReadsVacancy: latencyLeft 5 */
_ds_load_b32 v[vgprValuA_X3_I0+1], v[vgprLocalReadAddrA] offset:9280 // L -> Reg lro=2304 swapByteOffset=0 ti=16 vIdx=1 rIdx=0 oIdx=0 buffer=3 iui=0
_ds_load_b32 v[vgprValuB_X3_I0+1], v[vgprLocalReadAddrB] offset:6148 // L -> Reg lro=1536 swapByteOffset=0 ti=32 vIdx=0 rIdx=0 oIdx=0 buffer=3 iui=0
v_mfma_f32_16x16x4_f32 a[12+0:15+0], v[vgprValuB_X1_I0+1+0+0], v[vgprValuA_X1_I0+1+0+0], a[12:15]
/*  mfmaIndex:7  */
/* localReadsVacancy: latencyLeft 5 */
_ds_load_b32 v[vgprValuA_X4_I0+0], v[vgprLocalReadAddrA] offset:12288 // L -> Reg lro=3072 swapByteOffset=0 ti=16 vIdx=0 rIdx=0 oIdx=0 buffer=4 iui=0
_ds_load_b32 v[vgprValuB_X4_I0+0], v[vgprLocalReadAddrB] offset:8192 // L -> Reg lro=2048 swapByteOffset=0 ti=32 vIdx=0 rIdx=0 oIdx=0 buffer=4 iui=0
v_mfma_f32_16x16x4_f32 a[8+0:11+0], v[vgprValuB_X1_I0+1+0+0], v[vgprValuA_X1_I0+0+0+0], a[8:11]
/* numPrefetchIter=0 */
/* dataAtIterA=0 numReadsIterA=2 skipReadsIterA=1 readsPerIterA=2 */
/* dataAtIterB=0 numReadsIterB=2 skipReadsIterB=1 readsPerIterB=2 */


/* iter 2 */

/*  grEndMfmaIndex:4, lwStartMfmaIndex:17, lwEndMfmaIndex:26  */
/*  numMfmaForLR:3, barrierMfmaIndex:28, LocalWritePerMfma:2.580 */
/*  mfmaIndex:8  */
/* localReadsVacancy: latencyLeft 5 */
_ds_load_b32 v[vgprValuA_X4_I0+1], v[vgprLocalReadAddrA] offset:12352 // L -> Reg lro=3072 swapByteOffset=0 ti=16 vIdx=1 rIdx=0 oIdx=0 buffer=4 iui=0
_ds_load_b32 v[vgprValuB_X4_I0+1], v[vgprLocalReadAddrB] offset:8196 // L -> Reg lro=2048 swapByteOffset=0 ti=32 vIdx=0 rIdx=0 oIdx=0 buffer=4 iui=0
s_waitcnt lgkmcnt(8)                               // lgkmcnt=0 vmcnt=-1wait for prior local read local write old=4, new=4 newLW=0 newLR=0
v_mfma_f32_16x16x4_f32 a[0+0:3+0], v[vgprValuB_X2_I0+0+0+0], v[vgprValuA_X2_I0+0+0+0], a[0:3]
/*  mfmaIndex:9  */
/* localReadsVacancy: latencyLeft 5 */
_ds_load_b32 v[vgprValuA_X5_I0+0], v[vgprLocalReadAddrA] offset:15360 // L -> Reg lro=3840 swapByteOffset=0 ti=16 vIdx=0 rIdx=0 oIdx=0 buffer=5 iui=0
_ds_load_b32 v[vgprValuB_X5_I0+0], v[vgprLocalReadAddrB] offset:10240 // L -> Reg lro=2560 swapByteOffset=0 ti=32 vIdx=0 rIdx=0 oIdx=0 buffer=5 iui=0
v_mfma_f32_16x16x4_f32 a[4+0:7+0], v[vgprValuB_X2_I0+0+0+0], v[vgprValuA_X2_I0+1+0+0], a[4:7]
/*  mfmaIndex:10  */
/* localReadsVacancy: latencyLeft 5 */
_ds_load_b32 v[vgprValuA_X5_I0+1], v[vgprLocalReadAddrA] offset:15424 // L -> Reg lro=3840 swapByteOffset=0 ti=16 vIdx=1 rIdx=0 oIdx=0 buffer=5 iui=0
_ds_load_b32 v[vgprValuB_X5_I0+1], v[vgprLocalReadAddrB] offset:10244 // L -> Reg lro=2560 swapByteOffset=0 ti=32 vIdx=0 rIdx=0 oIdx=0 buffer=5 iui=0
v_mfma_f32_16x16x4_f32 a[12+0:15+0], v[vgprValuB_X2_I0+1+0+0], v[vgprValuA_X2_I0+1+0+0], a[12:15]
/*  mfmaIndex:11  */
/* localReadsVacancy: latencyLeft 5 */
_ds_load_b32 v[vgprValuA_X6_I0+0], v[vgprLocalReadAddrA] offset:18432 // L -> Reg lro=4608 swapByteOffset=0 ti=16 vIdx=0 rIdx=0 oIdx=0 buffer=6 iui=0
_ds_load_b32 v[vgprValuB_X6_I0+0], v[vgprLocalReadAddrB] offset:12288 // L -> Reg lro=3072 swapByteOffset=0 ti=32 vIdx=0 rIdx=0 oIdx=0 buffer=6 iui=0
v_mfma_f32_16x16x4_f32 a[8+0:11+0], v[vgprValuB_X2_I0+1+0+0], v[vgprValuA_X2_I0+0+0+0], a[8:11]
/* numPrefetchIter=0 */
/* dataAtIterA=1 numReadsIterA=3 skipReadsIterA=1 readsPerIterA=2 */
/* dataAtIterB=1 numReadsIterB=3 skipReadsIterB=1 readsPerIterB=2 */


/* iter 3 */

/*  grEndMfmaIndex:4, lwStartMfmaIndex:17, lwEndMfmaIndex:26  */
/*  numMfmaForLR:3, barrierMfmaIndex:28, LocalWritePerMfma:2.580 */
/*  mfmaIndex:12  */
/* localReadsVacancy: latencyLeft 5 */
_ds_load_b32 v[vgprValuA_X6_I0+1], v[vgprLocalReadAddrA] offset:18496 // L -> Reg lro=4608 swapByteOffset=0 ti=16 vIdx=1 rIdx=0 oIdx=0 buffer=6 iui=0
_ds_load_b32 v[vgprValuB_X6_I0+1], v[vgprLocalReadAddrB] offset:12292 // L -> Reg lro=3072 swapByteOffset=0 ti=32 vIdx=0 rIdx=0 oIdx=0 buffer=6 iui=0
s_waitcnt lgkmcnt(10)                              // lgkmcnt=0 vmcnt=-1wait for prior local read local write old=2, new=2 newLW=0 newLR=0
v_mfma_f32_16x16x4_f32 a[0+0:3+0], v[vgprValuB_X3_I0+0+0+0], v[vgprValuA_X3_I0+0+0+0], a[0:3]
/*  mfmaIndex:13  */
/* localReadsVacancy: latencyLeft 5 */
_ds_load_b32 v[vgprValuA_X7_I0+0], v[vgprLocalReadAddrA] offset:21504 // L -> Reg lro=5376 swapByteOffset=0 ti=16 vIdx=0 rIdx=0 oIdx=0 buffer=7 iui=0
_ds_load_b32 v[vgprValuB_X7_I0+0], v[vgprLocalReadAddrB] offset:14336 // L -> Reg lro=3584 swapByteOffset=0 ti=32 vIdx=0 rIdx=0 oIdx=0 buffer=7 iui=0
v_mfma_f32_16x16x4_f32 a[4+0:7+0], v[vgprValuB_X3_I0+0+0+0], v[vgprValuA_X3_I0+1+0+0], a[4:7]
/*  mfmaIndex:14  */
/* localReadsVacancy: latencyLeft 5 */
_ds_load_b32 v[vgprValuA_X7_I0+1], v[vgprLocalReadAddrA] offset:21568 // L -> Reg lro=5376 swapByteOffset=0 ti=16 vIdx=1 rIdx=0 oIdx=0 buffer=7 iui=0
_ds_load_b32 v[vgprValuB_X7_I0+1], v[vgprLocalReadAddrB] offset:14340 // L -> Reg lro=3584 swapByteOffset=0 ti=32 vIdx=0 rIdx=0 oIdx=0 buffer=7 iui=0
v_mfma_f32_16x16x4_f32 a[12+0:15+0], v[vgprValuB_X3_I0+1+0+0], v[vgprValuA_X3_I0+1+0+0], a[12:15]
/*  mfmaIndex:15  */
/* localReadsVacancy: latencyLeft 5 */
v_mfma_f32_16x16x4_f32 a[8+0:11+0], v[vgprValuB_X3_I0+1+0+0], v[vgprValuA_X3_I0+0+0+0], a[8:11]
/* numPrefetchIter=0 */
/* dataAtIterA=2 numReadsIterA=4 skipReadsIterA=1 readsPerIterA=2 */
/* dataAtIterB=2 numReadsIterB=4 skipReadsIterB=1 readsPerIterB=2 */


/* iter 4 */

/*  grEndMfmaIndex:4, lwStartMfmaIndex:17, lwEndMfmaIndex:26  */
/*  numMfmaForLR:3, barrierMfmaIndex:28, LocalWritePerMfma:2.580 */
/*  mfmaIndex:16  */
/* localReadsVacancy: latencyLeft 5 */
/* 1 LDS buffer: read-sync-write */
s_waitcnt lgkmcnt(0)                               // 
s_barrier                                          // 
s_waitcnt lgkmcnt(12)                              // lgkmcnt=0 vmcnt=-1wait for prior local read local write old=4, new=4 newLW=0 newLR=0
v_mfma_f32_16x16x4_f32 a[0+0:3+0], v[vgprValuB_X4_I0+0+0+0], v[vgprValuA_X4_I0+0+0+0], a[0:3]
/*  mfmaIndex:17  */
s_setprio 3                                        // store optimization
/* sched write - iter 4 writesPerItem=1 */
s_waitcnt vmcnt(0)                                 // lgkmcnt=-1 vmcnt=0wait for global read before writing to local
_ds_store_b32 v[vgprLocalWriteAddrA], v[vgprG2LA+0] offset:0 // lwoA_0_0_0_0 = (0*LSCA) + (0*LSPA)(*MT0I+PAD) = 0
/* sched write - iter 4 writesPerItem=1 */
s_waitcnt vmcnt(0)                                 // lgkmcnt=-1 vmcnt=0wait for global read before writing to local
_ds_store_b32 v[vgprLocalWriteAddrA], v[vgprG2LA+1] offset:1536 // lwoA_0_0_1_0 = (0*LSCA) + (1*LSPA)(*MT0I+PAD) = 1536
/* sched write - iter 4 writesPerItem=1 */
s_waitcnt vmcnt(0)                                 // lgkmcnt=-1 vmcnt=0wait for global read before writing to local
_ds_store_b32 v[vgprLocalWriteAddrA], v[vgprG2LA+2] offset:3072 // lwoA_0_0_2_0 = (0*LSCA) + (2*LSPA)(*MT0I+PAD) = 3072
v_mfma_f32_16x16x4_f32 a[4+0:7+0], v[vgprValuB_X4_I0+0+0+0], v[vgprValuA_X4_I0+1+0+0], a[4:7]
/*  mfmaIndex:18  */
/* sched write - iter 4 writesPerItem=1 */
s_waitcnt vmcnt(0)                                 // lgkmcnt=-1 vmcnt=0wait for global read before writing to local
_ds_store_b32 v[vgprLocalWriteAddrA], v[vgprG2LA+3] offset:4608 // lwoA_0_0_3_0 = (0*LSCA) + (3*LSPA)(*MT0I+PAD) = 4608
/* sched write - iter 4 writesPerItem=1 */
s_waitcnt vmcnt(0)                                 // lgkmcnt=-1 vmcnt=0wait for global read before writing to local
_ds_store_b32 v[vgprLocalWriteAddrA], v[vgprG2LA+4] offset:6144 // lwoA_0_0_4_0 = (0*LSCA) + (4*LSPA)(*MT0I+PAD) = 6144
/* sched write - iter 4 writesPerItem=1 */
s_waitcnt vmcnt(0)                                 // lgkmcnt=-1 vmcnt=0wait for global read before writing to local
_ds_store_b32 v[vgprLocalWriteAddrA], v[vgprG2LA+5] offset:7680 // lwoA_0_0_5_0 = (0*LSCA) + (5*LSPA)(*MT0I+PAD) = 7680
v_mfma_f32_16x16x4_f32 a[12+0:15+0], v[vgprValuB_X4_I0+1+0+0], v[vgprValuA_X4_I0+1+0+0], a[12:15]
/*  mfmaIndex:19  */
/* sched write - iter 4 writesPerItem=1 */
s_waitcnt vmcnt(0)                                 // lgkmcnt=-1 vmcnt=0wait for global read before writing to local
_ds_store_b32 v[vgprLocalWriteAddrA], v[vgprG2LA+6] offset:9216 // lwoA_0_0_6_0 = (0*LSCA) + (6*LSPA)(*MT0I+PAD) = 9216
/* sched write - iter 4 writesPerItem=1 */
s_waitcnt vmcnt(0)                                 // lgkmcnt=-1 vmcnt=0wait for global read before writing to local
_ds_store_b32 v[vgprLocalWriteAddrA], v[vgprG2LA+7] offset:10752 // lwoA_0_0_7_0 = (0*LSCA) + (7*LSPA)(*MT0I+PAD) = 10752
v_mfma_f32_16x16x4_f32 a[8+0:11+0], v[vgprValuB_X4_I0+1+0+0], v[vgprValuA_X4_I0+0+0+0], a[8:11]
/* numPrefetchIter=0 */
/* dataAtIterA=3 numReadsIterA=5 skipReadsIterA=1 readsPerIterA=2 */
/* dataAtIterB=3 numReadsIterB=5 skipReadsIterB=1 readsPerIterB=2 */


/* iter 5 */

/*  grEndMfmaIndex:4, lwStartMfmaIndex:17, lwEndMfmaIndex:26  */
/*  numMfmaForLR:3, barrierMfmaIndex:28, LocalWritePerMfma:2.580 */
/*  mfmaIndex:20  */
/* sched write - iter 5 writesPerItem=1 */
s_waitcnt vmcnt(0)                                 // lgkmcnt=-1 vmcnt=0wait for global read before writing to local
_ds_store_b32 v[vgprLocalWriteAddrA], v[vgprG2LA+8] offset:12288 // lwoA_0_0_8_0 = (0*LSCA) + (8*LSPA)(*MT0I+PAD) = 12288
/* sched write - iter 5 writesPerItem=1 */
s_waitcnt vmcnt(0)                                 // lgkmcnt=-1 vmcnt=0wait for global read before writing to local
_ds_store_b32 v[vgprLocalWriteAddrA], v[vgprG2LA+9] offset:13824 // lwoA_0_0_9_0 = (0*LSCA) + (9*LSPA)(*MT0I+PAD) = 13824
/* sched write - iter 5 writesPerItem=1 */
s_waitcnt vmcnt(0)                                 // lgkmcnt=-1 vmcnt=0wait for global read before writing to local
_ds_store_b32 v[vgprLocalWriteAddrA], v[vgprG2LA+10] offset:15360 // lwoA_0_0_10_0 = (0*LSCA) + (10*LSPA)(*MT0I+PAD) = 15360
v_mfma_f32_16x16x4_f32 a[0+0:3+0], v[vgprValuB_X5_I0+0+0+0], v[vgprValuA_X5_I0+0+0+0], a[0:3]
/*  mfmaIndex:21  */
/* sched write - iter 5 writesPerItem=1 */
s_waitcnt vmcnt(0)                                 // lgkmcnt=-1 vmcnt=0wait for global read before writing to local
_ds_store_b32 v[vgprLocalWriteAddrA], v[vgprG2LA+11] offset:16896 // lwoA_0_0_11_0 = (0*LSCA) + (11*LSPA)(*MT0I+PAD) = 16896
/* sched write - iter 5 writesPerItem=1 */
s_waitcnt vmcnt(0)                                 // lgkmcnt=-1 vmcnt=0wait for global read before writing to local
_ds_store_b32 v[vgprLocalWriteAddrA], v[vgprG2LA+12] offset:18432 // lwoA_0_0_12_0 = (0*LSCA) + (12*LSPA)(*MT0I+PAD) = 18432
v_mfma_f32_16x16x4_f32 a[4+0:7+0], v[vgprValuB_X5_I0+0+0+0], v[vgprValuA_X5_I0+1+0+0], a[4:7]
/*  mfmaIndex:22  */
/* sched write - iter 5 writesPerItem=1 */
s_waitcnt vmcnt(0)                                 // lgkmcnt=-1 vmcnt=0wait for global read before writing to local
_ds_store_b32 v[vgprLocalWriteAddrA], v[vgprG2LA+13] offset:19968 // lwoA_0_0_13_0 = (0*LSCA) + (13*LSPA)(*MT0I+PAD) = 19968
/* sched write - iter 5 writesPerItem=1 */
s_waitcnt vmcnt(0)                                 // lgkmcnt=-1 vmcnt=0wait for global read before writing to local
_ds_store_b32 v[vgprLocalWriteAddrA], v[vgprG2LA+14] offset:21504 // lwoA_0_0_14_0 = (0*LSCA) + (14*LSPA)(*MT0I+PAD) = 21504
/* sched write - iter 5 writesPerItem=1 */
s_waitcnt vmcnt(0)                                 // lgkmcnt=-1 vmcnt=0wait for global read before writing to local
_ds_store_b32 v[vgprLocalWriteAddrA], v[vgprG2LA+15] offset:23040 // lwoA_0_0_15_0 = (0*LSCA) + (15*LSPA)(*MT0I+PAD) = 23040
v_mfma_f32_16x16x4_f32 a[12+0:15+0], v[vgprValuB_X5_I0+1+0+0], v[vgprValuA_X5_I0+1+0+0], a[12:15]
/*  mfmaIndex:23  */
/* sched write - iter 5 writesPerItem=1 */
s_waitcnt vmcnt(0)                                 // lgkmcnt=-1 vmcnt=0wait for global read before writing to local
_ds_store_b64 v[vgprLocalWriteAddrB], v[vgprG2LB+0:vgprG2LB+0+1] offset:0 // lwoB_0_0_0_0 = (0*LSCB) + (0*LSPB)(*MT1J+PAD) = 0
/* sched write - iter 5 writesPerItem=1 */
s_waitcnt vmcnt(0)                                 // lgkmcnt=-1 vmcnt=0wait for global read before writing to local
_ds_store_b64 v[vgprLocalWriteAddrB], v[vgprG2LB+2:vgprG2LB+2+1] offset:2048 // lwoB_0_0_1_0 = (0*LSCB) + (1*LSPB)(*MT1J+PAD) = 2048
/* sched write - iter 5 writesPerItem=1 */
s_waitcnt vmcnt(0)                                 // lgkmcnt=-1 vmcnt=0wait for global read before writing to local
_ds_store_b64 v[vgprLocalWriteAddrB], v[vgprG2LB+4:vgprG2LB+4+1] offset:4096 // lwoB_0_0_2_0 = (0*LSCB) + (2*LSPB)(*MT1J+PAD) = 4096
v_mfma_f32_16x16x4_f32 a[8+0:11+0], v[vgprValuB_X5_I0+1+0+0], v[vgprValuA_X5_I0+0+0+0], a[8:11]


/* iter 6 (reset local read pointers iteration)  (swap and reset local write pointers iteration)  (swap local read pointers iteration)  */

/*  grEndMfmaIndex:4, lwStartMfmaIndex:17, lwEndMfmaIndex:26  */
/*  numMfmaForLR:3, barrierMfmaIndex:28, LocalWritePerMfma:2.580 */
/*  mfmaIndex:24  */
/* sched write - iter 6 writesPerItem=1 */
s_waitcnt vmcnt(0)                                 // lgkmcnt=-1 vmcnt=0wait for global read before writing to local
_ds_store_b64 v[vgprLocalWriteAddrB], v[vgprG2LB+6:vgprG2LB+6+1] offset:6144 // lwoB_0_0_3_0 = (0*LSCB) + (3*LSPB)(*MT1J+PAD) = 6144
/* sched write - iter 6 writesPerItem=1 */
s_waitcnt vmcnt(0)                                 // lgkmcnt=-1 vmcnt=0wait for global read before writing to local
_ds_store_b64 v[vgprLocalWriteAddrB], v[vgprG2LB+8:vgprG2LB+8+1] offset:8192 // lwoB_0_0_4_0 = (0*LSCB) + (4*LSPB)(*MT1J+PAD) = 8192
v_mfma_f32_16x16x4_f32 a[0+0:3+0], v[vgprValuB_X6_I0+0+0+0], v[vgprValuA_X6_I0+0+0+0], a[0:3]
/*  mfmaIndex:25  */
/* sched write - iter 6 writesPerItem=1 */
s_waitcnt vmcnt(0)                                 // lgkmcnt=-1 vmcnt=0wait for global read before writing to local
_ds_store_b64 v[vgprLocalWriteAddrB], v[vgprG2LB+10:vgprG2LB+10+1] offset:10240 // lwoB_0_0_5_0 = (0*LSCB) + (5*LSPB)(*MT1J+PAD) = 10240
/* sched write - iter 6 writesPerItem=1 */
s_waitcnt vmcnt(0)                                 // lgkmcnt=-1 vmcnt=0wait for global read before writing to local
_ds_store_b64 v[vgprLocalWriteAddrB], v[vgprG2LB+12:vgprG2LB+12+1] offset:12288 // lwoB_0_0_6_0 = (0*LSCB) + (6*LSPB)(*MT1J+PAD) = 12288
/* sched write - iter 6 writesPerItem=1 */
s_waitcnt vmcnt(0)                                 // lgkmcnt=-1 vmcnt=0wait for global read before writing to local
_ds_store_b64 v[vgprLocalWriteAddrB], v[vgprG2LB+14:vgprG2LB+14+1] offset:14336 // lwoB_0_0_7_0 = (0*LSCB) + (7*LSPB)(*MT1J+PAD) = 14336
v_mfma_f32_16x16x4_f32 a[4+0:7+0], v[vgprValuB_X6_I0+0+0+0], v[vgprValuA_X6_I0+1+0+0], a[4:7]
/*  mfmaIndex:26  */

/* local write swap offsets a */

/* local write swap offsets b */
v_mfma_f32_16x16x4_f32 a[12+0:15+0], v[vgprValuB_X6_I0+1+0+0], v[vgprValuA_X6_I0+1+0+0], a[12:15]
/*  mfmaIndex:27  */

/* local read swap offsets a */

/* local read swap offsets b */

/* local read init pointers a */

/* localReadInitPointers */

/* local read init pointers b */

/* localReadInitPointers */
v_mfma_f32_16x16x4_f32 a[8+0:11+0], v[vgprValuB_X6_I0+1+0+0], v[vgprValuA_X6_I0+0+0+0], a[8:11]
s_setprio 0                                        // store optimization


/* iter 7 */

/*  grEndMfmaIndex:4, lwStartMfmaIndex:17, lwEndMfmaIndex:26  */
/*  numMfmaForLR:3, barrierMfmaIndex:28, LocalWritePerMfma:2.580 */
/*  mfmaIndex:28  */
s_waitcnt lgkmcnt(0)                               // lgkmcnt=0 vmcnt=-13wait for local write
// Skip force waitcnt0
s_barrier //
v_mfma_f32_16x16x4_f32 a[0+0:3+0], v[vgprValuB_X7_I0+0+0+0], v[vgprValuA_X7_I0+0+0+0], a[0:3]
/*  mfmaIndex:29  */
s_setprio 3                                        // store optimization
_ds_load_b32 v[vgprValuA_X0_I0+0], v[vgprLocalReadAddrA] offset:0 // L -> Reg lro=0 swapByteOffset=0 ti=16 vIdx=0 rIdx=0 oIdx=0 buffer=0 iui=0
_ds_load_b32 v[vgprValuB_X0_I0+0], v[vgprLocalReadAddrB] offset:0 // L -> Reg lro=0 swapByteOffset=0 ti=32 vIdx=0 rIdx=0 oIdx=0 buffer=0 iui=0
v_mfma_f32_16x16x4_f32 a[4+0:7+0], v[vgprValuB_X7_I0+0+0+0], v[vgprValuA_X7_I0+1+0+0], a[4:7]
/*  mfmaIndex:30  */
_ds_load_b32 v[vgprValuA_X0_I0+1], v[vgprLocalReadAddrA] offset:64 // L -> Reg lro=0 swapByteOffset=0 ti=16 vIdx=1 rIdx=0 oIdx=0 buffer=0 iui=0
_ds_load_b32 v[vgprValuB_X0_I0+1], v[vgprLocalReadAddrB] offset:4 // L -> Reg lro=0 swapByteOffset=0 ti=32 vIdx=0 rIdx=0 oIdx=0 buffer=0 iui=0
v_mfma_f32_16x16x4_f32 a[12+0:15+0], v[vgprValuB_X7_I0+1+0+0], v[vgprValuA_X7_I0+1+0+0], a[12:15]
/*  mfmaIndex:31  */
v_mfma_f32_16x16x4_f32 a[8+0:11+0], v[vgprValuB_X7_I0+1+0+0], v[vgprValuA_X7_I0+0+0+0], a[8:11]
s_setprio 0                                        // store optimization

label_0014:


/******************************************/
/* Ord. NoLoadLoop - Begin                                      */
/******************************************/


	;; [unrolled: 1-line block ×4, first 2 shown]
/* iter 0 (last unrolled loop) */

/*  grEndMfmaIndex:0, lwStartMfmaIndex:26, lwEndMfmaIndex:26  */
/*  numMfmaForLR:3, barrierMfmaIndex:28, LocalWritePerMfma:2.580 */
/*  mfmaIndex:0  */
s_waitcnt lgkmcnt(0)                               // lgkmcnt=0 vmcnt=-1wait for prior local read local write old=0, new=0 newLW=0 newLR=0
v_mfma_f32_16x16x4_f32 a[0+0:3+0], v[vgprValuB_X0_I0+0+0+0], v[vgprValuA_X0_I0+0+0+0], a[0:3]
/*  mfmaIndex:1  */
_ds_load_b32 v[vgprValuA_X1_I0+0], v[vgprLocalReadAddrA] offset:3072 // L -> Reg lro=768 swapByteOffset=0 ti=16 vIdx=0 rIdx=0 oIdx=0 buffer=1 iui=0
_ds_load_b32 v[vgprValuB_X1_I0+0], v[vgprLocalReadAddrB] offset:2048 // L -> Reg lro=512 swapByteOffset=0 ti=32 vIdx=0 rIdx=0 oIdx=0 buffer=1 iui=0
v_mfma_f32_16x16x4_f32 a[4+0:7+0], v[vgprValuB_X0_I0+0+0+0], v[vgprValuA_X0_I0+1+0+0], a[4:7]
/*  mfmaIndex:2  */
_ds_load_b32 v[vgprValuA_X1_I0+1], v[vgprLocalReadAddrA] offset:3136 // L -> Reg lro=768 swapByteOffset=0 ti=16 vIdx=1 rIdx=0 oIdx=0 buffer=1 iui=0
_ds_load_b32 v[vgprValuB_X1_I0+1], v[vgprLocalReadAddrB] offset:2052 // L -> Reg lro=512 swapByteOffset=0 ti=32 vIdx=0 rIdx=0 oIdx=0 buffer=1 iui=0
/* localReadsVacancy: latencyLeft 1 */
v_mfma_f32_16x16x4_f32 a[12+0:15+0], v[vgprValuB_X0_I0+1+0+0], v[vgprValuA_X0_I0+1+0+0], a[12:15]
/*  mfmaIndex:3  */
/* localReadsVacancy: latencyLeft 5 */
_ds_load_b32 v[vgprValuA_X2_I0+0], v[vgprLocalReadAddrA] offset:6144 // L -> Reg lro=1536 swapByteOffset=0 ti=16 vIdx=0 rIdx=0 oIdx=0 buffer=2 iui=0
_ds_load_b32 v[vgprValuB_X2_I0+0], v[vgprLocalReadAddrB] offset:4096 // L -> Reg lro=1024 swapByteOffset=0 ti=32 vIdx=0 rIdx=0 oIdx=0 buffer=2 iui=0
v_mfma_f32_16x16x4_f32 a[8+0:11+0], v[vgprValuB_X0_I0+1+0+0], v[vgprValuA_X0_I0+0+0+0], a[8:11]
/* numPrefetchIter=0 */
/* dataAtIterA=-1 numReadsIterA=1 skipReadsIterA=1 readsPerIterA=2 */
/* dataAtIterB=-1 numReadsIterB=1 skipReadsIterB=1 readsPerIterB=2 */


/* iter 1 (last unrolled loop) */

/*  grEndMfmaIndex:0, lwStartMfmaIndex:26, lwEndMfmaIndex:26  */
/*  numMfmaForLR:3, barrierMfmaIndex:28, LocalWritePerMfma:2.580 */
/*  mfmaIndex:4  */
_ds_load_b32 v[vgprValuA_X2_I0+1], v[vgprLocalReadAddrA] offset:6208 // L -> Reg lro=1536 swapByteOffset=0 ti=16 vIdx=1 rIdx=0 oIdx=0 buffer=2 iui=0
_ds_load_b32 v[vgprValuB_X2_I0+1], v[vgprLocalReadAddrB] offset:4100 // L -> Reg lro=1024 swapByteOffset=0 ti=32 vIdx=0 rIdx=0 oIdx=0 buffer=2 iui=0
/* localReadsVacancy: latencyLeft 1 */
s_waitcnt lgkmcnt(4)                               // lgkmcnt=0 vmcnt=-1wait for prior local read local write old=2, new=4 newLW=0 newLR=2
v_mfma_f32_16x16x4_f32 a[0+0:3+0], v[vgprValuB_X1_I0+0+0+0], v[vgprValuA_X1_I0+0+0+0], a[0:3]
/*  mfmaIndex:5  */
/* localReadsVacancy: latencyLeft 5 */
_ds_load_b32 v[vgprValuA_X3_I0+0], v[vgprLocalReadAddrA] offset:9216 // L -> Reg lro=2304 swapByteOffset=0 ti=16 vIdx=0 rIdx=0 oIdx=0 buffer=3 iui=0
_ds_load_b32 v[vgprValuB_X3_I0+0], v[vgprLocalReadAddrB] offset:6144 // L -> Reg lro=1536 swapByteOffset=0 ti=32 vIdx=0 rIdx=0 oIdx=0 buffer=3 iui=0
v_mfma_f32_16x16x4_f32 a[4+0:7+0], v[vgprValuB_X1_I0+0+0+0], v[vgprValuA_X1_I0+1+0+0], a[4:7]
/*  mfmaIndex:6  */
/* localReadsVacancy: latencyLeft 5 */
_ds_load_b32 v[vgprValuA_X3_I0+1], v[vgprLocalReadAddrA] offset:9280 // L -> Reg lro=2304 swapByteOffset=0 ti=16 vIdx=1 rIdx=0 oIdx=0 buffer=3 iui=0
_ds_load_b32 v[vgprValuB_X3_I0+1], v[vgprLocalReadAddrB] offset:6148 // L -> Reg lro=1536 swapByteOffset=0 ti=32 vIdx=0 rIdx=0 oIdx=0 buffer=3 iui=0
v_mfma_f32_16x16x4_f32 a[12+0:15+0], v[vgprValuB_X1_I0+1+0+0], v[vgprValuA_X1_I0+1+0+0], a[12:15]
/*  mfmaIndex:7  */
/* localReadsVacancy: latencyLeft 5 */
_ds_load_b32 v[vgprValuA_X4_I0+0], v[vgprLocalReadAddrA] offset:12288 // L -> Reg lro=3072 swapByteOffset=0 ti=16 vIdx=0 rIdx=0 oIdx=0 buffer=4 iui=0
_ds_load_b32 v[vgprValuB_X4_I0+0], v[vgprLocalReadAddrB] offset:8192 // L -> Reg lro=2048 swapByteOffset=0 ti=32 vIdx=0 rIdx=0 oIdx=0 buffer=4 iui=0
v_mfma_f32_16x16x4_f32 a[8+0:11+0], v[vgprValuB_X1_I0+1+0+0], v[vgprValuA_X1_I0+0+0+0], a[8:11]
/* numPrefetchIter=0 */
/* dataAtIterA=0 numReadsIterA=2 skipReadsIterA=1 readsPerIterA=2 */
/* dataAtIterB=0 numReadsIterB=2 skipReadsIterB=1 readsPerIterB=2 */


/* iter 2 (last unrolled loop) */

/*  grEndMfmaIndex:0, lwStartMfmaIndex:26, lwEndMfmaIndex:26  */
/*  numMfmaForLR:3, barrierMfmaIndex:28, LocalWritePerMfma:2.580 */
/*  mfmaIndex:8  */
/* localReadsVacancy: latencyLeft 5 */
_ds_load_b32 v[vgprValuA_X4_I0+1], v[vgprLocalReadAddrA] offset:12352 // L -> Reg lro=3072 swapByteOffset=0 ti=16 vIdx=1 rIdx=0 oIdx=0 buffer=4 iui=0
_ds_load_b32 v[vgprValuB_X4_I0+1], v[vgprLocalReadAddrB] offset:8196 // L -> Reg lro=2048 swapByteOffset=0 ti=32 vIdx=0 rIdx=0 oIdx=0 buffer=4 iui=0
s_waitcnt lgkmcnt(8)                               // lgkmcnt=0 vmcnt=-1wait for prior local read local write old=4, new=4 newLW=0 newLR=0
v_mfma_f32_16x16x4_f32 a[0+0:3+0], v[vgprValuB_X2_I0+0+0+0], v[vgprValuA_X2_I0+0+0+0], a[0:3]
/*  mfmaIndex:9  */
/* localReadsVacancy: latencyLeft 5 */
_ds_load_b32 v[vgprValuA_X5_I0+0], v[vgprLocalReadAddrA] offset:15360 // L -> Reg lro=3840 swapByteOffset=0 ti=16 vIdx=0 rIdx=0 oIdx=0 buffer=5 iui=0
_ds_load_b32 v[vgprValuB_X5_I0+0], v[vgprLocalReadAddrB] offset:10240 // L -> Reg lro=2560 swapByteOffset=0 ti=32 vIdx=0 rIdx=0 oIdx=0 buffer=5 iui=0
v_mfma_f32_16x16x4_f32 a[4+0:7+0], v[vgprValuB_X2_I0+0+0+0], v[vgprValuA_X2_I0+1+0+0], a[4:7]
/*  mfmaIndex:10  */
/* localReadsVacancy: latencyLeft 5 */
_ds_load_b32 v[vgprValuA_X5_I0+1], v[vgprLocalReadAddrA] offset:15424 // L -> Reg lro=3840 swapByteOffset=0 ti=16 vIdx=1 rIdx=0 oIdx=0 buffer=5 iui=0
_ds_load_b32 v[vgprValuB_X5_I0+1], v[vgprLocalReadAddrB] offset:10244 // L -> Reg lro=2560 swapByteOffset=0 ti=32 vIdx=0 rIdx=0 oIdx=0 buffer=5 iui=0
v_mfma_f32_16x16x4_f32 a[12+0:15+0], v[vgprValuB_X2_I0+1+0+0], v[vgprValuA_X2_I0+1+0+0], a[12:15]
/*  mfmaIndex:11  */
/* localReadsVacancy: latencyLeft 5 */
_ds_load_b32 v[vgprValuA_X6_I0+0], v[vgprLocalReadAddrA] offset:18432 // L -> Reg lro=4608 swapByteOffset=0 ti=16 vIdx=0 rIdx=0 oIdx=0 buffer=6 iui=0
_ds_load_b32 v[vgprValuB_X6_I0+0], v[vgprLocalReadAddrB] offset:12288 // L -> Reg lro=3072 swapByteOffset=0 ti=32 vIdx=0 rIdx=0 oIdx=0 buffer=6 iui=0
v_mfma_f32_16x16x4_f32 a[8+0:11+0], v[vgprValuB_X2_I0+1+0+0], v[vgprValuA_X2_I0+0+0+0], a[8:11]
/* numPrefetchIter=0 */
/* dataAtIterA=1 numReadsIterA=3 skipReadsIterA=1 readsPerIterA=2 */
/* dataAtIterB=1 numReadsIterB=3 skipReadsIterB=1 readsPerIterB=2 */


/* iter 3 (last unrolled loop) */

/*  grEndMfmaIndex:0, lwStartMfmaIndex:26, lwEndMfmaIndex:26  */
/*  numMfmaForLR:3, barrierMfmaIndex:28, LocalWritePerMfma:2.580 */
/*  mfmaIndex:12  */
/* localReadsVacancy: latencyLeft 5 */
_ds_load_b32 v[vgprValuA_X6_I0+1], v[vgprLocalReadAddrA] offset:18496 // L -> Reg lro=4608 swapByteOffset=0 ti=16 vIdx=1 rIdx=0 oIdx=0 buffer=6 iui=0
_ds_load_b32 v[vgprValuB_X6_I0+1], v[vgprLocalReadAddrB] offset:12292 // L -> Reg lro=3072 swapByteOffset=0 ti=32 vIdx=0 rIdx=0 oIdx=0 buffer=6 iui=0
s_waitcnt lgkmcnt(10)                              // lgkmcnt=0 vmcnt=-1wait for prior local read local write old=2, new=2 newLW=0 newLR=0
v_mfma_f32_16x16x4_f32 a[0+0:3+0], v[vgprValuB_X3_I0+0+0+0], v[vgprValuA_X3_I0+0+0+0], a[0:3]
/*  mfmaIndex:13  */
/* localReadsVacancy: latencyLeft 5 */
_ds_load_b32 v[vgprValuA_X7_I0+0], v[vgprLocalReadAddrA] offset:21504 // L -> Reg lro=5376 swapByteOffset=0 ti=16 vIdx=0 rIdx=0 oIdx=0 buffer=7 iui=0
_ds_load_b32 v[vgprValuB_X7_I0+0], v[vgprLocalReadAddrB] offset:14336 // L -> Reg lro=3584 swapByteOffset=0 ti=32 vIdx=0 rIdx=0 oIdx=0 buffer=7 iui=0
v_mfma_f32_16x16x4_f32 a[4+0:7+0], v[vgprValuB_X3_I0+0+0+0], v[vgprValuA_X3_I0+1+0+0], a[4:7]
/*  mfmaIndex:14  */
/* localReadsVacancy: latencyLeft 5 */
_ds_load_b32 v[vgprValuA_X7_I0+1], v[vgprLocalReadAddrA] offset:21568 // L -> Reg lro=5376 swapByteOffset=0 ti=16 vIdx=1 rIdx=0 oIdx=0 buffer=7 iui=0
_ds_load_b32 v[vgprValuB_X7_I0+1], v[vgprLocalReadAddrB] offset:14340 // L -> Reg lro=3584 swapByteOffset=0 ti=32 vIdx=0 rIdx=0 oIdx=0 buffer=7 iui=0
v_mfma_f32_16x16x4_f32 a[12+0:15+0], v[vgprValuB_X3_I0+1+0+0], v[vgprValuA_X3_I0+1+0+0], a[12:15]
/*  mfmaIndex:15  */
/* localReadsVacancy: latencyLeft 5 */
v_mfma_f32_16x16x4_f32 a[8+0:11+0], v[vgprValuB_X3_I0+1+0+0], v[vgprValuA_X3_I0+0+0+0], a[8:11]
/* numPrefetchIter=0 */
/* dataAtIterA=2 numReadsIterA=4 skipReadsIterA=1 readsPerIterA=2 */
/* dataAtIterB=2 numReadsIterB=4 skipReadsIterB=1 readsPerIterB=2 */


/* iter 4 (last unrolled loop) */

/*  grEndMfmaIndex:0, lwStartMfmaIndex:26, lwEndMfmaIndex:26  */
/*  numMfmaForLR:3, barrierMfmaIndex:28, LocalWritePerMfma:2.580 */
/*  mfmaIndex:16  */
/* localReadsVacancy: latencyLeft 5 */
s_waitcnt lgkmcnt(12)                              // lgkmcnt=0 vmcnt=-1wait for prior local read local write old=4, new=4 newLW=0 newLR=0
v_mfma_f32_16x16x4_f32 a[0+0:3+0], v[vgprValuB_X4_I0+0+0+0], v[vgprValuA_X4_I0+0+0+0], a[0:3]
/*  mfmaIndex:17  */
/* localReadsVacancy: latencyLeft 5 */
v_mfma_f32_16x16x4_f32 a[4+0:7+0], v[vgprValuB_X4_I0+0+0+0], v[vgprValuA_X4_I0+1+0+0], a[4:7]
/*  mfmaIndex:18  */
/* localReadsVacancy: latencyLeft 5 */
	;; [unrolled: 3-line block ×3, first 2 shown]
v_mfma_f32_16x16x4_f32 a[8+0:11+0], v[vgprValuB_X4_I0+1+0+0], v[vgprValuA_X4_I0+0+0+0], a[8:11]
/* numPrefetchIter=0 */
/* dataAtIterA=3 numReadsIterA=5 skipReadsIterA=1 readsPerIterA=2 */
/* dataAtIterB=3 numReadsIterB=5 skipReadsIterB=1 readsPerIterB=2 */


/* iter 5 (last unrolled loop) */

/*  grEndMfmaIndex:0, lwStartMfmaIndex:26, lwEndMfmaIndex:26  */
/*  numMfmaForLR:3, barrierMfmaIndex:28, LocalWritePerMfma:2.580 */
/*  mfmaIndex:20  */
/* localReadsVacancy: latencyLeft 5 */
s_waitcnt lgkmcnt(8)                               // lgkmcnt=0 vmcnt=-1wait for prior local read local write old=4, new=4 newLW=0 newLR=0
v_mfma_f32_16x16x4_f32 a[0+0:3+0], v[vgprValuB_X5_I0+0+0+0], v[vgprValuA_X5_I0+0+0+0], a[0:3]
/*  mfmaIndex:21  */
/* localReadsVacancy: latencyLeft 5 */
v_mfma_f32_16x16x4_f32 a[4+0:7+0], v[vgprValuB_X5_I0+0+0+0], v[vgprValuA_X5_I0+1+0+0], a[4:7]
/*  mfmaIndex:22  */
/* localReadsVacancy: latencyLeft 5 */
	;; [unrolled: 3-line block ×3, first 2 shown]
v_mfma_f32_16x16x4_f32 a[8+0:11+0], v[vgprValuB_X5_I0+1+0+0], v[vgprValuA_X5_I0+0+0+0], a[8:11]
/* numPrefetchIter=0 */
/* dataAtIterA=4 numReadsIterA=6 skipReadsIterA=1 readsPerIterA=2 */
/* dataAtIterB=4 numReadsIterB=6 skipReadsIterB=1 readsPerIterB=2 */


/* iter 6 (last unrolled loop) */

/*  grEndMfmaIndex:0, lwStartMfmaIndex:26, lwEndMfmaIndex:26  */
/*  numMfmaForLR:3, barrierMfmaIndex:28, LocalWritePerMfma:2.580 */
/*  mfmaIndex:24  */
/* localReadsVacancy: latencyLeft 5 */
s_waitcnt lgkmcnt(4)                               // lgkmcnt=0 vmcnt=-1wait for prior local read local write old=4, new=4 newLW=0 newLR=0
v_mfma_f32_16x16x4_f32 a[0+0:3+0], v[vgprValuB_X6_I0+0+0+0], v[vgprValuA_X6_I0+0+0+0], a[0:3]
/*  mfmaIndex:25  */
/* localReadsVacancy: latencyLeft 5 */
/* 1 LDS buffer: read-sync-write */
s_waitcnt lgkmcnt(0)                               // 
s_barrier                                          // 
v_mfma_f32_16x16x4_f32 a[4+0:7+0], v[vgprValuB_X6_I0+0+0+0], v[vgprValuA_X6_I0+1+0+0], a[4:7]
/*  mfmaIndex:26  */
/* localReadsVacancy: latencyLeft 5 */
s_setprio 3                                        // store optimization
v_mfma_f32_16x16x4_f32 a[12+0:15+0], v[vgprValuB_X6_I0+1+0+0], v[vgprValuA_X6_I0+1+0+0], a[12:15]
/*  mfmaIndex:27  */
v_mfma_f32_16x16x4_f32 a[8+0:11+0], v[vgprValuB_X6_I0+1+0+0], v[vgprValuA_X6_I0+0+0+0], a[8:11]
s_setprio 0                                        // store optimization
/* numPrefetchIter=0 */
/* dataAtIterA=5 numReadsIterA=7 skipReadsIterA=1 readsPerIterA=2 */
/* dataAtIterB=5 numReadsIterB=7 skipReadsIterB=1 readsPerIterB=2 */


/* iter 7 (last unrolled loop) */

/*  grEndMfmaIndex:0, lwStartMfmaIndex:26, lwEndMfmaIndex:26  */
/*  numMfmaForLR:3, barrierMfmaIndex:28, LocalWritePerMfma:2.580 */
/*  mfmaIndex:28  */
v_mfma_f32_16x16x4_f32 a[0+0:3+0], v[vgprValuB_X7_I0+0+0+0], v[vgprValuA_X7_I0+0+0+0], a[0:3]
/*  mfmaIndex:29  */
s_setprio 3                                        // store optimization
v_mfma_f32_16x16x4_f32 a[4+0:7+0], v[vgprValuB_X7_I0+0+0+0], v[vgprValuA_X7_I0+1+0+0], a[4:7]
/*  mfmaIndex:30  */
v_mfma_f32_16x16x4_f32 a[12+0:15+0], v[vgprValuB_X7_I0+1+0+0], v[vgprValuA_X7_I0+1+0+0], a[12:15]
/*  mfmaIndex:31  */
v_mfma_f32_16x16x4_f32 a[8+0:11+0], v[vgprValuB_X7_I0+1+0+0], v[vgprValuA_X7_I0+0+0+0], a[8:11]

PrefetchGlobalLastIterEnd_5:


/******************************************/
/* Tail Loop                              */
/******************************************/


/* local write reset offsets a */


	;; [unrolled: 1-line block ×4, first 2 shown]
/* local write reset offsets b */


	;; [unrolled: 1-line block ×4, first 2 shown]
//numIterL = (((sizeL % LOCAL_DEPTHU) + LOCAL_SPLITU - 1) / LOCAL_SPLITU)
s_and_b32 s[sgprLoopCounterL], 127, s[sgprSizesSum+0] // s[sgprLoopCounterL] = s[sgprSizesSum+0] % 128
s_cmp_lg_u32 s[sgprGSUSumIdx], s[sgprGSUSumIdx+1]  // gsuSumIdx == numIterPerWgRemainder
s_cmov_b32 s[sgprLoopCounterL], 0x0                // numIter=0 if gsuSumIdx!=remainder
s_cmp_eq_u32 s[sgprLoopCounterL], 0x0              // numIterL == 0
s_cbranch_scc1 SkipTailLoopL_8                     // skip to end of tail loop b/c numIter==0
s_mov_b32 s[sgprOrigLoopCounter], 0                // repurpose to count each localRead increment


/* Update M0 for DTLDS */


	;; [unrolled: 1-line block ×3, first 2 shown]
/* global read a */

/* g2l=0, load component 0 */
_buffer_load_b32 v[vgprG2LA+0+0], v[vgprGlobalReadOffsetA+0], s[sgprSrdA:sgprSrdA+3], 0, offen offset:0 // load one buffer value
/* g2l=1, load component 0 */
_buffer_load_b32 v[vgprG2LA+1+0], v[vgprGlobalReadOffsetA+1], s[sgprSrdA:sgprSrdA+3], 0, offen offset:0 // load one buffer value
	;; [unrolled: 2-line block ×16, first 2 shown]


/* Update M0 for DTLDS */


	;; [unrolled: 1-line block ×3, first 2 shown]
/* global read b */

/* g2l=0, load component 0 */
_buffer_load_b32 v[vgprG2LB+0+0], v[vgprGlobalReadOffsetB+0], s[sgprSrdB:sgprSrdB+3], 0, offen offset:0 // load one buffer value
/* g2l=0, load component 1 */
_buffer_load_b32 v[vgprG2LB+0+1], v[vgprGlobalReadOffsetB+0], s[sgprSrdB:sgprSrdB+3], 0, offen offset:4 // load one buffer value
	;; [unrolled: 2-line block ×16, first 2 shown]

s_waitcnt vmcnt(0)                                 // lgkmcnt=-1 vmcnt=02wait for global read

// Skip force waitcnt0
s_barrier //


/* Done global A/B reads */


	;; [unrolled: 1-line block ×4, first 2 shown]
/* local write a */

_ds_store_b32 v[vgprLocalWriteAddrA], v[vgprG2LA+0] offset:0 // lwoA_0_0_0_0 = (0*LSCA) + (0*LSPA)(*MT0I+PAD) = 0
_ds_store_b32 v[vgprLocalWriteAddrA], v[vgprG2LA+1] offset:1536 // lwoA_0_0_1_0 = (0*LSCA) + (1*LSPA)(*MT0I+PAD) = 1536
_ds_store_b32 v[vgprLocalWriteAddrA], v[vgprG2LA+2] offset:3072 // lwoA_0_0_2_0 = (0*LSCA) + (2*LSPA)(*MT0I+PAD) = 3072
_ds_store_b32 v[vgprLocalWriteAddrA], v[vgprG2LA+3] offset:4608 // lwoA_0_0_3_0 = (0*LSCA) + (3*LSPA)(*MT0I+PAD) = 4608
_ds_store_b32 v[vgprLocalWriteAddrA], v[vgprG2LA+4] offset:6144 // lwoA_0_0_4_0 = (0*LSCA) + (4*LSPA)(*MT0I+PAD) = 6144
_ds_store_b32 v[vgprLocalWriteAddrA], v[vgprG2LA+5] offset:7680 // lwoA_0_0_5_0 = (0*LSCA) + (5*LSPA)(*MT0I+PAD) = 7680
_ds_store_b32 v[vgprLocalWriteAddrA], v[vgprG2LA+6] offset:9216 // lwoA_0_0_6_0 = (0*LSCA) + (6*LSPA)(*MT0I+PAD) = 9216
_ds_store_b32 v[vgprLocalWriteAddrA], v[vgprG2LA+7] offset:10752 // lwoA_0_0_7_0 = (0*LSCA) + (7*LSPA)(*MT0I+PAD) = 10752
_ds_store_b32 v[vgprLocalWriteAddrA], v[vgprG2LA+8] offset:12288 // lwoA_0_0_8_0 = (0*LSCA) + (8*LSPA)(*MT0I+PAD) = 12288
_ds_store_b32 v[vgprLocalWriteAddrA], v[vgprG2LA+9] offset:13824 // lwoA_0_0_9_0 = (0*LSCA) + (9*LSPA)(*MT0I+PAD) = 13824
_ds_store_b32 v[vgprLocalWriteAddrA], v[vgprG2LA+10] offset:15360 // lwoA_0_0_10_0 = (0*LSCA) + (10*LSPA)(*MT0I+PAD) = 15360
_ds_store_b32 v[vgprLocalWriteAddrA], v[vgprG2LA+11] offset:16896 // lwoA_0_0_11_0 = (0*LSCA) + (11*LSPA)(*MT0I+PAD) = 16896
_ds_store_b32 v[vgprLocalWriteAddrA], v[vgprG2LA+12] offset:18432 // lwoA_0_0_12_0 = (0*LSCA) + (12*LSPA)(*MT0I+PAD) = 18432
_ds_store_b32 v[vgprLocalWriteAddrA], v[vgprG2LA+13] offset:19968 // lwoA_0_0_13_0 = (0*LSCA) + (13*LSPA)(*MT0I+PAD) = 19968
_ds_store_b32 v[vgprLocalWriteAddrA], v[vgprG2LA+14] offset:21504 // lwoA_0_0_14_0 = (0*LSCA) + (14*LSPA)(*MT0I+PAD) = 21504
_ds_store_b32 v[vgprLocalWriteAddrA], v[vgprG2LA+15] offset:23040 // lwoA_0_0_15_0 = (0*LSCA) + (15*LSPA)(*MT0I+PAD) = 23040


/* local write b */

_ds_store_b64 v[vgprLocalWriteAddrB], v[vgprG2LB+0:vgprG2LB+0+1] offset:0 // lwoB_0_0_0_0 = (0*LSCB) + (0*LSPB)(*MT1J+PAD) = 0
_ds_store_b64 v[vgprLocalWriteAddrB], v[vgprG2LB+2:vgprG2LB+2+1] offset:2048 // lwoB_0_0_1_0 = (0*LSCB) + (1*LSPB)(*MT1J+PAD) = 2048
_ds_store_b64 v[vgprLocalWriteAddrB], v[vgprG2LB+4:vgprG2LB+4+1] offset:4096 // lwoB_0_0_2_0 = (0*LSCB) + (2*LSPB)(*MT1J+PAD) = 4096
_ds_store_b64 v[vgprLocalWriteAddrB], v[vgprG2LB+6:vgprG2LB+6+1] offset:6144 // lwoB_0_0_3_0 = (0*LSCB) + (3*LSPB)(*MT1J+PAD) = 6144
_ds_store_b64 v[vgprLocalWriteAddrB], v[vgprG2LB+8:vgprG2LB+8+1] offset:8192 // lwoB_0_0_4_0 = (0*LSCB) + (4*LSPB)(*MT1J+PAD) = 8192
_ds_store_b64 v[vgprLocalWriteAddrB], v[vgprG2LB+10:vgprG2LB+10+1] offset:10240 // lwoB_0_0_5_0 = (0*LSCB) + (5*LSPB)(*MT1J+PAD) = 10240
_ds_store_b64 v[vgprLocalWriteAddrB], v[vgprG2LB+12:vgprG2LB+12+1] offset:12288 // lwoB_0_0_6_0 = (0*LSCB) + (6*LSPB)(*MT1J+PAD) = 12288
_ds_store_b64 v[vgprLocalWriteAddrB], v[vgprG2LB+14:vgprG2LB+14+1] offset:14336 // lwoB_0_0_7_0 = (0*LSCB) + (7*LSPB)(*MT1J+PAD) = 14336


/* Recalc local read offsets */


s_waitcnt lgkmcnt(0)                               // lgkmcnt=0 vmcnt=-15wait for local write

// Skip force waitcnt0
s_barrier //


/* local read reset offsets a */


	;; [unrolled: 1-line block ×3, first 2 shown]
/* local read reset offsets b */


	;; [unrolled: 1-line block ×3, first 2 shown]
/* local read init pointers a */


/* localReadInitPointers */


/* local read init pointers b */


/* localReadInitPointers */


/* tail loop: macs */

TailLoopBeginL_6:


/* local read a */

_ds_load_b32 v[vgprValuA_X0_I0+0], v[vgprLocalReadAddrA] offset:0 // L -> Reg lro=0 swapByteOffset=0 ti=16 vIdx=0 rIdx=0 oIdx=0 buffer=0 iui=0
_ds_load_b32 v[vgprValuA_X0_I0+1], v[vgprLocalReadAddrA] offset:64 // L -> Reg lro=0 swapByteOffset=0 ti=16 vIdx=1 rIdx=0 oIdx=0 buffer=0 iui=0


/* local read b */

_ds_load_b32 v[vgprValuB_X0_I0+0], v[vgprLocalReadAddrB] offset:0 // L -> Reg lro=0 swapByteOffset=0 ti=32 vIdx=0 rIdx=0 oIdx=0 buffer=0 iui=0
_ds_load_b32 v[vgprValuB_X0_I0+1], v[vgprLocalReadAddrB] offset:4 // L -> Reg lro=0 swapByteOffset=0 ti=32 vIdx=0 rIdx=0 oIdx=0 buffer=0 iui=0


/* local read inc a */

s_mov_b32 s10, 0xc00                               // inc
_v_add_co_u32 v[vgprLocalReadAddrA], vcc, s10, v[vgprLocalReadAddrA] // lrA += 3072 (LSU*(MT+PAD)*bpe)


/* local read inc b */

s_mov_b32 s10, 0x800                               // inc
_v_add_co_u32 v[vgprLocalReadAddrB], vcc, s10, v[vgprLocalReadAddrB] // lrB += 2048 (LSU*(MT+PAD)*bpe)

s_waitcnt lgkmcnt(0)                               // lgkmcnt=0 vmcnt=-14wait for local read


v_mfma_f32_16x16x4_f32 a[0+0:3+0], v[vgprValuB_X0_I0+0+0+0], v[vgprValuA_X0_I0+0+0+0], a[0:3]
v_mfma_f32_16x16x4_f32 a[4+0:7+0], v[vgprValuB_X0_I0+0+0+0], v[vgprValuA_X0_I0+1+0+0], a[4:7]
	;; [unrolled: 1-line block ×4, first 2 shown]


/* closeLoop loopL finalLoop=1 tailLoop=1 */
s_sub_i32 s[sgprLoopCounterL], s[sgprLoopCounterL], 0x10 // dec counterL (tailLoop)
s_add_u32 s[sgprOrigLoopCounter], s[sgprOrigLoopCounter], 0x10 // inc counterL
s_cmp_le_i32 s[sgprLoopCounterL], 0x0              // counterL<=0
s_cbranch_scc0 TailLoopBeginL_6                    // restart LoopL
TailLoopEndL_7:

SkipTailLoopL_8:

Summation_End_19:
s_setprio 0                                        // optimization store
/* endSummation: add vgpr [16...106) to pool */
.set NumFullBlocks, UNDEF
.set WgmRemainder1, UNDEF
.set MagicNumberWgmRemainder1, UNDEF

/* Mapping of Acc register -> C Vgpr register */


/* shift vector components d1 */

v_mov_b32 v17, s[sgprWorkGroup1]                   // 
v_mul_i32_i24 v17, -0x20, v17                      // wg*MT
_v_add_co_u32 v17, vcc, s[sgprSizesFree+1], v17    // wgMT = Size - wg*MT
v_mov_b32 v18, 0x20                                // MT
v_min_u32 v17, v18, v17                            // wgMT = (wgMT < MT) ? wgMT : MT
v_lshrrev_b32 v16, 6, v[vgprSerial]                // v16 = v[vgprSerial] / 64
v_and_b32 v19, 0, v16                              // v19 = v16 % 1
v_lshrrev_b32 v16, 5, v17                          // v16 = v17 / 32
v_and_b32 v20, 0, v16                              // v20 = v16 % 1
v_cmp_eq_u32 s[10:11], v20, v19                    // wave_id == block_belong_to_wave?
v_cndmask_b32 v17, v18, v17, s[10:11]              // wgMT = (wgMT < MT) ? wgMT : MT

/* mbReg: which mb block need to shift, mb(matrixInstCoal(16) * VectorWidth(2)) */
v_lshrrev_b32 v18, 5, v17                          // v18 = v17 / 32
v_lshlrev_b32 v20, 0x0, v19                        // v20 = v19 * 1
_v_sub_u32 v18, v18, v20                           // 

/* gbReg: glvw block id */
v_lshrrev_b32 v20, 1, v17                          // v20 = v17 / 2

/* tgbReg: glvw block id */
v_lshrrev_b32 v16, 4, v[vgprSerial]                // v16 = v[vgprSerial] / 16
v_and_b32 v21, 3, v16                              // v21 = v16 % 4
v_lshlrev_b32 v21, 0x3, v21                        // v21 = v21 * 8
v_lshrrev_b32 v21, 1, v21                          // v21 = v21 / 2
v_lshlrev_b32 v19, 0x4, v19                        // v19 = v19 * 16
_v_add_co_u32 v21, vcc, v19, v21                   // tgbReg = (tid_coal * continOut) / GLVW
_v_sub_u32 v20, v20, v21                           // 

/* vwReg: glvw in which vw block? */
v_and_b32 v19, 7, v17                              // permute register between threads
v_lshrrev_b32 v19, 1, v19                          // permute register between threads

/* rReg : reminder of M_size % GlobalLoadVectorWidth */
v_and_b32 v21, 1, v17                              // v21 = v17 % 2
v_cmp_eq_u32 vcc, v21, 0x1                         // wgMT%VW == 1
s_cbranch_vccnz label_0020                         // branch to shift d1 r=1
s_branch label_0026                                // no shifting

/******************************************/
/* shift d1 r=1                           */
/******************************************/
label_0020:
v_cmp_eq_u32 vcc, v18, 0x0                         // 
s_cbranch_vccnz label_0021                         // branch to shift d1 r1 mb0

/******************************************/
/* shift d1 r=1 mb=0                      */
/******************************************/
label_0021: // r1 mb0 
v_cmp_eq_u32 vcc, v19, 0x0                         // 
s_cbranch_vccnz label_0022                         // branch to shift d1 r1 mb0 vw0
v_cmp_eq_u32 vcc, v19, 0x1                         // 
s_cbranch_vccnz label_0023                         // branch to shift d1 r1 mb0 vw1
v_cmp_eq_u32 vcc, v19, 0x2                         // 
s_cbranch_vccnz label_0024                         // branch to shift d1 r1 mb0 vw2
v_cmp_eq_u32 vcc, v19, 0x3                         // 
s_cbranch_vccnz label_0025                         // branch to shift d1 r1 mb0 vw3

/******************************************/
/* shift d1 r=1 mb=0 vw0                  */
/******************************************/
label_0022: // r1 mb0 vw0 
s_mov_b32 s10, 0                                   // 
_v_cmpx_eq_u32 s[10:11], v20, s10                  // is thread in edge glvw region
v_and_b32 v16, 63, v[vgprSerial]                   // permute register between threads
v_lshlrev_b32 v16, 2, v16                          // permute register between threads
v_accvgpr_read_b32 v21, acc8                       // glvw 1 mb 0 tt1 0 r 0
s_nop 1                                            // v_accvgpr read vgpr after write vgpr: 2 wait states
v_accvgpr_write_b32 acc0, v21                      // 
v_accvgpr_read_b32 v21, acc12                      // glvw 1 mb 0 tt1 1 r 0
s_nop 1                                            // v_accvgpr read vgpr after write vgpr: 2 wait states
v_accvgpr_write_b32 acc4, v21                      // 
s_mov_b64 s[10:11], 0xFFFFFFFFFFFFFFFF             // to restore all threads active
s_or_saveexec_b64 vcc, s[10:11]                    // all threads active
s_branch label_0026                                // done shifting


/******************************************/
/* shift d1 r=1 mb=0 vw1                  */
/******************************************/
label_0023: // r1 mb0 vw1 
s_mov_b32 s10, 1                                   // 
_v_cmpx_eq_u32 s[10:11], v20, s10                  // is thread in edge glvw region
v_and_b32 v16, 63, v[vgprSerial]                   // permute register between threads
v_lshlrev_b32 v16, 2, v16                          // permute register between threads
v_accvgpr_read_b32 v21, acc9                       // glvw 1 mb 0 tt1 0 r 0
s_nop 1                                            // v_accvgpr read vgpr after write vgpr: 2 wait states
v_accvgpr_write_b32 acc1, v21                      // 
v_accvgpr_read_b32 v21, acc13                      // glvw 1 mb 0 tt1 1 r 0
s_nop 1                                            // v_accvgpr read vgpr after write vgpr: 2 wait states
v_accvgpr_write_b32 acc5, v21                      // 
s_mov_b64 s[10:11], 0xFFFFFFFFFFFFFFFF             // to restore all threads active
s_or_saveexec_b64 vcc, s[10:11]                    // all threads active
s_branch label_0026                                // done shifting


/******************************************/
/* shift d1 r=1 mb=0 vw2                  */
/******************************************/
label_0024: // r1 mb0 vw2 
s_mov_b32 s10, 2                                   // 
_v_cmpx_eq_u32 s[10:11], v20, s10                  // is thread in edge glvw region
v_and_b32 v16, 63, v[vgprSerial]                   // permute register between threads
v_lshlrev_b32 v16, 2, v16                          // permute register between threads
v_accvgpr_read_b32 v21, acc10                      // glvw 1 mb 0 tt1 0 r 0
s_nop 1                                            // v_accvgpr read vgpr after write vgpr: 2 wait states
v_accvgpr_write_b32 acc2, v21                      // 
v_accvgpr_read_b32 v21, acc14                      // glvw 1 mb 0 tt1 1 r 0
s_nop 1                                            // v_accvgpr read vgpr after write vgpr: 2 wait states
v_accvgpr_write_b32 acc6, v21                      // 
s_mov_b64 s[10:11], 0xFFFFFFFFFFFFFFFF             // to restore all threads active
s_or_saveexec_b64 vcc, s[10:11]                    // all threads active
s_branch label_0026                                // done shifting


/******************************************/
/* shift d1 r=1 mb=0 vw3                  */
/******************************************/
label_0025: // r1 mb0 vw3 
s_mov_b32 s10, 3                                   // 
_v_cmpx_eq_u32 s[10:11], v20, s10                  // is thread in edge glvw region
v_and_b32 v16, 63, v[vgprSerial]                   // permute register between threads
v_lshlrev_b32 v16, 2, v16                          // permute register between threads
v_accvgpr_read_b32 v21, acc11                      // glvw 1 mb 0 tt1 0 r 0
s_nop 1                                            // v_accvgpr read vgpr after write vgpr: 2 wait states
v_accvgpr_write_b32 acc3, v21                      // 
v_accvgpr_read_b32 v21, acc15                      // glvw 1 mb 0 tt1 1 r 0
s_nop 1                                            // v_accvgpr read vgpr after write vgpr: 2 wait states
v_accvgpr_write_b32 acc7, v21                      // 
s_mov_b64 s[10:11], 0xFFFFFFFFFFFFFFFF             // to restore all threads active
s_or_saveexec_b64 vcc, s[10:11]                    // all threads active
s_branch label_0026                                // done shifting

label_0026: // end shift0


	;; [unrolled: 1-line block ×3, first 2 shown]
/******************************************/
/* LocalSplitU Reduction                  */
/******************************************/

// Skip force waitcnt0
s_barrier //


/* LocalSplitU: local write */


/* Mapping of Acc register -> C Vgpr register */
v_lshrrev_b32 v18, 6, v[vgprSerial]                // v18 = v[vgprSerial] / 64
v_and_b32 v17, 63, v[vgprSerial]                   // v17 = v[vgprSerial] % 64
v_lshrrev_b32 v17, 4, v17                          // v17 = v17 / 16
v_lshlrev_b32 v17, 0x2, v17                        // thread0 * continuous_output
v_lshlrev_b32 v17, 0x1, v17                        // coordination 1 *= vwB
v_lshlrev_b32 v17, 0x7, v17                        // coordination 1 *= (MT0*bpe)
v_lshlrev_b32 v18, 0xc, v18                        // sgOffset = sg_id * (MT0*MT1*bpe)
_v_add_u32 v17, v18, v17                           // tid1 += sgOffset
v_and_b32 v16, 15, v[vgprSerial]                   // v16 = v[vgprSerial] % 16
v_lshlrev_b32 v16, 0x2, v16                        // coordination 0 *= (VWA*bpe)
_v_add_u32 v16, v17, v16                           // tid = tid0 + tid1
v_accvgpr_read_b32 v[vgprValuC+17], acc0 // copy acc to vreg[0]
s_nop 1                                            // 2 wait states required before reading vgpr
_ds_store_b32 v16, v[vgprValuC+17], offset:0       // 
v_accvgpr_read_b32 v[vgprValuC+17], acc4 // copy acc to vreg[1]
s_nop 1                                            // 2 wait states required before reading vgpr
_ds_store_b32 v16, v[vgprValuC+17], offset:64      // 
v_accvgpr_read_b32 v[vgprValuC+17], acc8 // copy acc to vreg[2]
s_nop 1                                            // 2 wait states required before reading vgpr
_ds_store_b32 v16, v[vgprValuC+17], offset:128     // 
v_accvgpr_read_b32 v[vgprValuC+17], acc12 // copy acc to vreg[3]
s_nop 1                                            // 2 wait states required before reading vgpr
_ds_store_b32 v16, v[vgprValuC+17], offset:192     // 
v_accvgpr_read_b32 v[vgprValuC+17], acc1 // copy acc to vreg[4]
s_nop 1                                            // 2 wait states required before reading vgpr
_ds_store_b32 v16, v[vgprValuC+17], offset:256     // 
v_accvgpr_read_b32 v[vgprValuC+17], acc5 // copy acc to vreg[5]
s_nop 1                                            // 2 wait states required before reading vgpr
_ds_store_b32 v16, v[vgprValuC+17], offset:320     // 
v_accvgpr_read_b32 v[vgprValuC+17], acc9 // copy acc to vreg[6]
s_nop 1                                            // 2 wait states required before reading vgpr
_ds_store_b32 v16, v[vgprValuC+17], offset:384     // 
v_accvgpr_read_b32 v[vgprValuC+17], acc13 // copy acc to vreg[7]
s_nop 1                                            // 2 wait states required before reading vgpr
_ds_store_b32 v16, v[vgprValuC+17], offset:448     // 
v_accvgpr_read_b32 v[vgprValuC+17], acc2 // copy acc to vreg[8]
s_nop 1                                            // 2 wait states required before reading vgpr
_ds_store_b32 v16, v[vgprValuC+17], offset:512     // 
v_accvgpr_read_b32 v[vgprValuC+17], acc6 // copy acc to vreg[9]
s_nop 1                                            // 2 wait states required before reading vgpr
_ds_store_b32 v16, v[vgprValuC+17], offset:576     // 
v_accvgpr_read_b32 v[vgprValuC+17], acc10 // copy acc to vreg[10]
s_nop 1                                            // 2 wait states required before reading vgpr
_ds_store_b32 v16, v[vgprValuC+17], offset:640     // 
v_accvgpr_read_b32 v[vgprValuC+17], acc14 // copy acc to vreg[11]
s_nop 1                                            // 2 wait states required before reading vgpr
_ds_store_b32 v16, v[vgprValuC+17], offset:704     // 
v_accvgpr_read_b32 v[vgprValuC+17], acc3 // copy acc to vreg[12]
s_nop 1                                            // 2 wait states required before reading vgpr
_ds_store_b32 v16, v[vgprValuC+17], offset:768     // 
v_accvgpr_read_b32 v[vgprValuC+17], acc7 // copy acc to vreg[13]
s_nop 1                                            // 2 wait states required before reading vgpr
_ds_store_b32 v16, v[vgprValuC+17], offset:832     // 
v_accvgpr_read_b32 v[vgprValuC+17], acc11 // copy acc to vreg[14]
s_nop 1                                            // 2 wait states required before reading vgpr
_ds_store_b32 v16, v[vgprValuC+17], offset:896     // 
v_accvgpr_read_b32 v[vgprValuC+17], acc15 // copy acc to vreg[15]
s_nop 1                                            // 2 wait states required before reading vgpr
_ds_store_b32 v16, v[vgprValuC+17], offset:960     // 
s_waitcnt lgkmcnt(0)                               // wait for all writes
// Skip force waitcnt0
s_barrier //post-lsu local write


/* LocalSplitU: local read */

v_lshlrev_b32 v16, 0x2, v[vgprSerial]              // v16 = v[vgprSerial] * 4
_ds_load_b32 v[vgprValuC+0], v16, offset:0         // r=0 i=0 s=0
_ds_load_b32 v[vgprValuC+1], v16, offset:1024      // r=0 i=1 s=0
_ds_load_b32 v[vgprValuC+2], v16, offset:2048      // r=0 i=2 s=0
	;; [unrolled: 1-line block ×9, first 2 shown]
_ds_load_b32 v[vgprValuC+10], v16, offset:10240    // r=2 i=2 s=0
_ds_load_b32 v[vgprValuC+11], v16, offset:11264    // r=2 i=3 s=0
	;; [unrolled: 1-line block ×6, first 2 shown]
s_waitcnt lgkmcnt(0)                               // wait for all reads


/* LocalSplitU: reduction */

v_add_f32 v[vgprValuC+0], v[vgprValuC+4], v[vgprValuC+0] // c[0] += c[4]
v_add_f32 v[vgprValuC+1], v[vgprValuC+5], v[vgprValuC+1] // c[1] += c[5]
	;; [unrolled: 1-line block ×12, first 2 shown]


/* LocalSplitU: global write indices */

/* computeStoreVgprs */
v_lshrrev_b32 v17, 5, v[vgprSerial]                // v17 = v[vgprSerial] / 32
v_and_b32 v16, 31, v[vgprSerial]                   // v16 = v[vgprSerial] % 32
                                                   // v16 = v16 * 1 (multiplier is 1, do nothing)
v_mul_lo_u32 v18, v17, s[sgprStrideC1J]            // rowStart vgpr
v_mul_lo_u32 v19, v17, s[sgprStrideD1J]            // rowStart vgpr

s_mul_i32 s36, 0x20, s[sgprWorkGroup0]             // s36 = wg0*MT0
_v_add_co_u32 v16, vcc, s36, v16                   // coord0 = tid0*VW + wg0*MT0
s_mul_i32 s38, 0x20, s[sgprWorkGroup1]             // <- wg1*MT1
_v_add_co_u32 v17, vcc, s38, v17                   // coord1 = tid1*VW + wg1*MT1


/* LocalSplitU: global write */

s_and_b32 s36, 31, s[sgprSizeI]                    // s36 = s[sgprSizeI] % 32
s_add_u32 s37, -0x1, s[sgprNumWorkGroups0]         // 
s_cmp_ge_u32 s[sgprWorkGroup0], s37                // wg0 >= nwg0-1 ?
s_cselect_b32 s36, s36, 0                          // set rMT0
s_cmpk_gt_u32 s36, 0x0                             // rMT0 > 0
s_cbranch_scc1 GW_B0_E1_37                         // jump if edges required
s_and_b32 s36, 31, s[sgprSizeJ]                    // s36 = s[sgprSizeJ] % 32
s_add_u32 s37, -0x1, s[sgprNumWorkGroups1]         // 
s_cmp_ge_u32 s[sgprWorkGroup1], s37                // wg1 >= nwg1-1
s_cselect_b32 s36, s36, 0                          // set rMT1
s_cmpk_gt_u32 s36, 0x0                             // rMT1 > 0
s_cbranch_scc1 GW_B0_E1_37                         // jump if edges required
GW_B0_E0_34:

/* edge=0, allocate 2 sgpr. perBatchTmpS=2 perBatchMaskS=0 perElementMaskS=0 elementsPerBatch=4 */
/* optSingleColVgpr=1 optSharedColVgpr=0 optSGPRUsage=BufferLoad_Mask optSrdIncForRow=1 */
s_sleep 7 // optimization: sync and wait
s_barrier

/******************************************/
/* Global Write Alpha Batch #0 (d1,d0,vc1,vc0) = */
/*    (0,0,0,0:vw1); (1,0,0,0:vw1); (2,0,0,0:vw1); (3,0,0,0:vw1) */
/******************************************/

/* calc coords, apply mask, and issue loads (if necessary) */
/* (d1,vc1,d0,vc0)=(0,0,0,0) */
/* (d1,vc1,d0,vc0)=(1,0,0,0) */
	;; [unrolled: 1-line block ×4, first 2 shown]
_v_add_lshl_u32 v22, v19, v16, 0x2                 // optSingleColVgpr scaleToBpe: sharedAddrVgpr <- cinRowPtr + coord0, scaled by BPE. BSHERE:coord0=16, coord0Vgpr=16

/* rC *= alpha batchElements=[(0, 0, 0, 0), (1, 0, 0, 0), (2, 0, 0, 0), (3, 0, 0, 0)] */

/* apply mask, calc new C and issue writes */
_buffer_store_b32 v0, v22, s[sgprSrdD:sgprSrdD+3], 0, offen, offset:0 // store D
s_mul_i32 s10, s[sgprStrideD1J], 32                // scale StrideD *= numRows(8) * bpe
s_add_u32  s[sgprSrdD+0], s[sgprSrdD+0], s10       // incToNextRow: gra SRD += inc(lower)
s_addc_u32  s[sgprSrdD+1], s[sgprSrdD+1], 0        // incToNextRow: gra SRD += inc(upper)
_buffer_store_b32 v1, v22, s[sgprSrdD:sgprSrdD+3], 0, offen, offset:0 // store D
s_mul_i32 s10, s[sgprStrideD1J], 32                // scale StrideD *= numRows(8) * bpe
s_add_u32  s[sgprSrdD+0], s[sgprSrdD+0], s10       // incToNextRow: gra SRD += inc(lower)
s_addc_u32  s[sgprSrdD+1], s[sgprSrdD+1], 0        // incToNextRow: gra SRD += inc(upper)
	;; [unrolled: 4-line block ×3, first 2 shown]
_buffer_store_b32 v3, v22, s[sgprSrdD:sgprSrdD+3], 0, offen, offset:0 // store D
s_branch label_GW_End_39                           // jump to end
GW_B0_E1_37:

/* edge=1, allocate 6 sgpr. perBatchTmpS=4 perBatchMaskS=2 perElementMaskS=0 elementsPerBatch=84 */
/* optSingleColVgpr=0 optSharedColVgpr=0 optSGPRUsage=BufferLoad_Edge_Mask optSrdIncForRow=0 */
s_sleep 7 // optimization: sync and wait
s_barrier

/******************************************/
/* Global Write Alpha Edge Batch #0 (d1,d0,vc1,vc0) = */
/*    (0,0,0,0:vw1); (1,0,0,0:vw1); (2,0,0,0:vw1); (3,0,0,0:vw1) */
/******************************************/

/* calc coords, apply mask, and issue loads (if necessary) */
/* (d1,vc1,d0,vc0)=(0,0,0,0) */
v_cmp_lt_u32 s[56:57], v16, s[sgprSizeI]           // coord0 < size0
v_cmp_lt_u32 s[60:61], v17, s[sgprSizeJ]           // coord1 < size1
s_and_b64 s[60:61], s[56:57], s[60:61]             // in0 && in1
_v_add_lshl_u32 v22, v19, v16, 0x2                 // scaleToBpe: accumulate d0 lower and *= bpe into Cin addr
v_cndmask_b32 v22, -1, v22, s[60:61]               // LDD clip if OOB. offset
/* (d1,vc1,d0,vc0)=(1,0,0,0) */
_v_add_co_u32 v17, vcc, v17, 8                     // coord1.1: coord1Vgpr += d1*sg1*VW + vc1

/* Fix for UseInitialStridesCD, emitAddressSetupCode */
s_mul_i32 s56, s[sgprStrideC1J], 8                 // scale stride
_v_add_u32 v18, v18, s56                           // ROWINC- Move cinRowPtr to next row
s_mul_i32 s56, s[sgprStrideD1J], 8                 // scale stride
_v_add_u32 v19, v19, s56                           // Move coutRowPtr to next row
v_cmp_lt_u32 s[56:57], v16, s[sgprSizeI]           // coord0 < size0
v_cmp_lt_u32 s[60:61], v17, s[sgprSizeJ]           // coord1 < size1
s_and_b64 s[60:61], s[56:57], s[60:61]             // in0 && in1
_v_add_lshl_u32 v23, v19, v16, 0x2                 // scaleToBpe: accumulate d0 lower and *= bpe into Cin addr
v_cndmask_b32 v23, -1, v23, s[60:61]               // LDD clip if OOB. offset
/* (d1,vc1,d0,vc0)=(2,0,0,0) */
_v_add_co_u32 v17, vcc, v17, 8                     // coord1.1: coord1Vgpr += d1*sg1*VW + vc1

/* Fix for UseInitialStridesCD, emitAddressSetupCode */
s_mul_i32 s56, s[sgprStrideC1J], 8                 // scale stride
_v_add_u32 v18, v18, s56                           // ROWINC- Move cinRowPtr to next row
s_mul_i32 s56, s[sgprStrideD1J], 8                 // scale stride
_v_add_u32 v19, v19, s56                           // Move coutRowPtr to next row
v_cmp_lt_u32 s[56:57], v16, s[sgprSizeI]           // coord0 < size0
v_cmp_lt_u32 s[60:61], v17, s[sgprSizeJ]           // coord1 < size1
s_and_b64 s[60:61], s[56:57], s[60:61]             // in0 && in1
_v_add_lshl_u32 v24, v19, v16, 0x2                 // scaleToBpe: accumulate d0 lower and *= bpe into Cin addr
v_cndmask_b32 v24, -1, v24, s[60:61]               // LDD clip if OOB. offset
/* (d1,vc1,d0,vc0)=(3,0,0,0) */
_v_add_co_u32 v17, vcc, v17, 8                     // coord1.1: coord1Vgpr += d1*sg1*VW + vc1

/* Fix for UseInitialStridesCD, emitAddressSetupCode */
s_mul_i32 s56, s[sgprStrideC1J], 8                 // scale stride
_v_add_u32 v18, v18, s56                           // ROWINC- Move cinRowPtr to next row
s_mul_i32 s56, s[sgprStrideD1J], 8                 // scale stride
_v_add_u32 v19, v19, s56                           // Move coutRowPtr to next row
v_cmp_lt_u32 s[56:57], v16, s[sgprSizeI]           // coord0 < size0
v_cmp_lt_u32 s[60:61], v17, s[sgprSizeJ]           // coord1 < size1
s_and_b64 s[60:61], s[56:57], s[60:61]             // in0 && in1
_v_add_lshl_u32 v25, v19, v16, 0x2                 // scaleToBpe: accumulate d0 lower and *= bpe into Cin addr
v_cndmask_b32 v25, -1, v25, s[60:61]               // LDD clip if OOB. offset

/* rC *= alpha batchElements=[(0, 0, 0, 0), (1, 0, 0, 0), (2, 0, 0, 0), (3, 0, 0, 0)] */

/* apply mask, calc new C and issue writes */
_buffer_store_b32 v0, v22, s[sgprSrdD:sgprSrdD+3], 0, offen, offset:0 // store D
_buffer_store_b32 v1, v23, s[sgprSrdD:sgprSrdD+3], 0, offen, offset:0 // store D
	;; [unrolled: 1-line block ×4, first 2 shown]
s_branch label_GW_End_39                           // jump to end
label_GW_End_39:

label_0044:  /// KernelEnd
s_endpgm                                           // Kernel End

